;; amdgpu-corpus repo=pytorch/pytorch kind=compiled arch=gfx1201 opt=O3
	.amdgcn_target "amdgcn-amd-amdhsa--gfx1201"
	.amdhsa_code_object_version 6
	.section	.text._ZN2at6native12_GLOBAL__N_132weight_norm_fwd_first_dim_kernelIddEEvPT_PT0_PKS3_S8_i,"axG",@progbits,_ZN2at6native12_GLOBAL__N_132weight_norm_fwd_first_dim_kernelIddEEvPT_PT0_PKS3_S8_i,comdat
	.globl	_ZN2at6native12_GLOBAL__N_132weight_norm_fwd_first_dim_kernelIddEEvPT_PT0_PKS3_S8_i ; -- Begin function _ZN2at6native12_GLOBAL__N_132weight_norm_fwd_first_dim_kernelIddEEvPT_PT0_PKS3_S8_i
	.p2align	8
	.type	_ZN2at6native12_GLOBAL__N_132weight_norm_fwd_first_dim_kernelIddEEvPT_PT0_PKS3_S8_i,@function
_ZN2at6native12_GLOBAL__N_132weight_norm_fwd_first_dim_kernelIddEEvPT_PT0_PKS3_S8_i: ; @_ZN2at6native12_GLOBAL__N_132weight_norm_fwd_first_dim_kernelIddEEvPT_PT0_PKS3_S8_i
; %bb.0:
	s_clause 0x3
	s_load_b32 s14, s[0:1], 0x20
	s_load_b32 s3, s[0:1], 0x34
	s_load_b64 s[4:5], s[0:1], 0x0
	s_load_b64 s[6:7], s[0:1], 0x10
	v_and_b32_e32 v7, 0x3ff, v0
	v_mov_b32_e32 v3, 0
	v_mov_b32_e32 v4, 0
	s_mov_b32 s8, ttmp9
	s_wait_kmcnt 0x0
	s_mul_i32 s2, s14, ttmp9
	s_and_b32 s15, s3, 0xffff
	v_add_nc_u32_e32 v1, s2, v7
	v_cmp_gt_i32_e64 s2, s14, v7
	s_delay_alu instid0(VALU_DEP_2)
	v_ashrrev_i32_e32 v2, 31, v1
	s_and_saveexec_b32 s9, s2
	s_cbranch_execz .LBB0_4
; %bb.1:
	s_delay_alu instid0(VALU_DEP_1) | instskip(SKIP_4) | instid1(VALU_DEP_3)
	v_lshlrev_b64_e32 v[5:6], 3, v[1:2]
	v_dual_mov_b32 v3, 0 :: v_dual_mov_b32 v8, v7
	v_mov_b32_e32 v4, 0
	s_lshl_b32 s11, s15, 3
	s_mov_b32 s10, 0
	v_add_co_u32 v5, vcc_lo, s6, v5
	s_delay_alu instid0(VALU_DEP_1)
	v_add_co_ci_u32_e64 v6, null, s7, v6, vcc_lo
.LBB0_2:                                ; =>This Inner Loop Header: Depth=1
	global_load_b64 v[9:10], v[5:6], off
	v_add_nc_u32_e32 v8, s15, v8
	v_add_co_u32 v5, s3, v5, s11
	s_wait_alu 0xf1ff
	v_add_co_ci_u32_e64 v6, null, 0, v6, s3
	s_delay_alu instid0(VALU_DEP_3)
	v_cmp_le_i32_e32 vcc_lo, s14, v8
	s_or_b32 s10, vcc_lo, s10
	s_wait_loadcnt 0x0
	v_fma_f64 v[3:4], v[9:10], v[9:10], v[3:4]
	s_wait_alu 0xfffe
	s_and_not1_b32 exec_lo, exec_lo, s10
	s_cbranch_execnz .LBB0_2
; %bb.3:
	s_or_b32 exec_lo, exec_lo, s10
.LBB0_4:
	s_delay_alu instid0(SALU_CYCLE_1)
	s_or_b32 exec_lo, exec_lo, s9
	s_clause 0x1
	s_load_b64 s[12:13], s[0:1], 0x8
	s_load_b64 s[10:11], s[0:1], 0x18
	s_add_nc_u64 s[0:1], s[0:1], 40
	v_bfe_u32 v0, v0, 10, 10
	s_load_u16 s0, s[0:1], 0xe
	s_delay_alu instid0(VALU_DEP_1) | instskip(SKIP_2) | instid1(SALU_CYCLE_1)
	v_mad_u32_u24 v0, v0, s15, v7
	s_wait_kmcnt 0x0
	s_mul_i32 s0, s0, s15
	s_cmp_gt_i32 s0, 63
	s_cselect_b32 s1, -1, 0
	s_cmp_lt_i32 s0, 64
	s_cbranch_scc1 .LBB0_6
; %bb.5:
	v_lshl_add_u32 v5, v0, 3, 0
	ds_store_b64 v5, v[3:4]
	s_wait_dscnt 0x0
	s_barrier_signal -1
	s_barrier_wait -1
	global_inv scope:SCOPE_SE
.LBB0_6:
	s_ashr_i32 s0, s0, 1
	s_delay_alu instid0(SALU_CYCLE_1)
	s_cmp_lt_i32 s0, 64
	s_cbranch_scc1 .LBB0_11
; %bb.7:
	v_lshl_add_u32 v5, v0, 3, 0
	s_branch .LBB0_9
.LBB0_8:                                ;   in Loop: Header=BB0_9 Depth=1
	s_wait_alu 0xfffe
	s_or_b32 exec_lo, exec_lo, s3
	s_lshr_b32 s3, s0, 1
	s_cmp_lt_u32 s0, 0x80
	s_wait_alu 0xfffe
	s_mov_b32 s0, s3
	s_wait_loadcnt_dscnt 0x0
	s_barrier_signal -1
	s_barrier_wait -1
	global_inv scope:SCOPE_SE
	s_cbranch_scc1 .LBB0_11
.LBB0_9:                                ; =>This Inner Loop Header: Depth=1
	s_mov_b32 s3, exec_lo
	s_wait_alu 0xfffe
	v_cmpx_gt_i32_e64 s0, v0
	s_cbranch_execz .LBB0_8
; %bb.10:                               ;   in Loop: Header=BB0_9 Depth=1
	v_lshl_add_u32 v6, s0, 3, v5
	ds_load_b64 v[8:9], v5
	ds_load_b64 v[10:11], v6
	s_wait_dscnt 0x0
	v_add_f64_e32 v[8:9], v[8:9], v[10:11]
	ds_store_b64 v5, v[8:9]
	s_branch .LBB0_8
.LBB0_11:
	s_mov_b32 s0, exec_lo
	v_cmpx_gt_u32_e32 32, v0
	s_cbranch_execz .LBB0_16
; %bb.12:
	s_and_not1_b32 vcc_lo, exec_lo, s1
	s_wait_alu 0xfffe
	s_cbranch_vccnz .LBB0_14
; %bb.13:
	v_lshl_add_u32 v3, v0, 3, 0
	ds_load_2addr_b64 v[3:6], v3 offset1:32
	s_wait_dscnt 0x0
	v_add_f64_e32 v[3:4], v[3:4], v[5:6]
.LBB0_14:
	v_mbcnt_lo_u32_b32 v8, -1, 0
	s_delay_alu instid0(VALU_DEP_1)
	v_lshl_or_b32 v6, v8, 2, 64
	v_cmp_gt_u32_e32 vcc_lo, 24, v8
	ds_bpermute_b32 v5, v6, v3
	ds_bpermute_b32 v6, v6, v4
	s_wait_dscnt 0x0
	v_add_f64_e32 v[3:4], v[3:4], v[5:6]
	s_wait_alu 0xfffd
	v_cndmask_b32_e64 v5, 0, 8, vcc_lo
	v_cmp_gt_u32_e32 vcc_lo, 28, v8
	s_delay_alu instid0(VALU_DEP_2)
	v_add_lshl_u32 v6, v5, v8, 2
	ds_bpermute_b32 v5, v6, v3
	ds_bpermute_b32 v6, v6, v4
	s_wait_dscnt 0x0
	v_add_f64_e32 v[3:4], v[3:4], v[5:6]
	s_wait_alu 0xfffd
	v_cndmask_b32_e64 v5, 0, 4, vcc_lo
	v_cmp_gt_u32_e32 vcc_lo, 30, v8
	s_delay_alu instid0(VALU_DEP_2)
	v_add_lshl_u32 v6, v5, v8, 2
	ds_bpermute_b32 v5, v6, v3
	ds_bpermute_b32 v6, v6, v4
	s_wait_dscnt 0x0
	v_add_f64_e32 v[3:4], v[3:4], v[5:6]
	s_wait_alu 0xfffd
	v_cndmask_b32_e64 v5, 0, 2, vcc_lo
	v_cmp_ne_u32_e32 vcc_lo, 31, v8
	s_delay_alu instid0(VALU_DEP_2)
	v_add_lshl_u32 v6, v5, v8, 2
	ds_bpermute_b32 v5, v6, v3
	ds_bpermute_b32 v6, v6, v4
	s_wait_dscnt 0x0
	v_add_f64_e32 v[3:4], v[3:4], v[5:6]
	s_wait_alu 0xfffd
	v_add_co_ci_u32_e64 v5, null, 0, v8, vcc_lo
	v_cmp_eq_u32_e32 vcc_lo, 0, v0
	s_delay_alu instid0(VALU_DEP_2)
	v_lshlrev_b32_e32 v6, 2, v5
	ds_bpermute_b32 v5, v6, v3
	ds_bpermute_b32 v6, v6, v4
	s_and_b32 exec_lo, exec_lo, vcc_lo
	s_cbranch_execz .LBB0_16
; %bb.15:
	s_wait_dscnt 0x0
	v_add_f64_e32 v[3:4], v[3:4], v[5:6]
	v_mov_b32_e32 v0, 0
	ds_store_b64 v0, v[3:4]
.LBB0_16:
	s_wait_alu 0xfffe
	s_or_b32 exec_lo, exec_lo, s0
	v_mov_b32_e32 v0, 0
	s_wait_loadcnt_dscnt 0x0
	s_barrier_signal -1
	s_barrier_wait -1
	global_inv scope:SCOPE_SE
	ds_load_b64 v[3:4], v0
	s_wait_dscnt 0x0
	v_cvt_f32_f64_e32 v3, v[3:4]
	s_delay_alu instid0(VALU_DEP_1) | instskip(SKIP_4) | instid1(SALU_CYCLE_1)
	v_readfirstlane_b32 s0, v3
	v_cmp_gt_f32_e32 vcc_lo, 0xf800000, v3
	s_mul_f32 s1, s0, 0x4f800000
	s_cmp_lt_f32 s0, 0xf800000
	s_wait_alu 0xfffe
	s_cselect_b32 s0, s1, s0
	s_wait_alu 0xfffe
	v_s_sqrt_f32 s1, s0
	s_mov_b32 s9, s0
	s_mov_b32 s17, s0
	s_delay_alu instid0(TRANS32_DEP_1) | instskip(SKIP_2) | instid1(SALU_CYCLE_1)
	s_add_co_i32 s3, s1, -1
	s_wait_alu 0xfffe
	s_xor_b32 s16, s3, 0x80000000
	s_fmac_f32 s9, s16, s1
	s_delay_alu instid0(SALU_CYCLE_3) | instskip(SKIP_2) | instid1(SALU_CYCLE_1)
	s_cmp_le_f32 s9, 0
	s_cselect_b32 s3, s3, s1
	s_add_co_i32 s9, s1, 1
	s_xor_b32 s16, s9, 0x80000000
	s_delay_alu instid0(SALU_CYCLE_1) | instskip(NEXT) | instid1(SALU_CYCLE_3)
	s_fmac_f32 s17, s16, s1
	s_cmp_gt_f32 s17, 0
	s_wait_alu 0xfffe
	s_cselect_b32 s1, s9, s3
	s_ashr_i32 s9, s8, 31
	s_wait_alu 0xfffe
	s_mul_f32 s3, s1, 0x37800000
	s_wait_alu 0xfffe
	s_delay_alu instid0(SALU_CYCLE_2) | instskip(SKIP_1) | instid1(VALU_DEP_1)
	v_mov_b32_e32 v4, s3
	s_wait_alu 0xfffd
	v_cndmask_b32_e32 v3, s1, v4, vcc_lo
	v_cmp_class_f32_e64 s1, s0, 0x260
	s_wait_alu 0xf1ff
	s_delay_alu instid0(VALU_DEP_1) | instskip(SKIP_1) | instid1(VALU_DEP_1)
	v_cndmask_b32_e64 v3, v3, s0, s1
	s_mov_b32 s0, exec_lo
	v_cvt_f64_f32_e32 v[3:4], v3
	v_cmpx_eq_u32_e32 0, v7
	s_cbranch_execz .LBB0_18
; %bb.17:
	s_lshl_b64 s[16:17], s[8:9], 3
	s_delay_alu instid0(SALU_CYCLE_1)
	s_add_nc_u64 s[12:13], s[12:13], s[16:17]
	global_store_b64 v0, v[3:4], s[12:13]
.LBB0_18:
	s_wait_alu 0xfffe
	s_or_b32 exec_lo, exec_lo, s0
	s_and_saveexec_b32 s0, s2
	s_cbranch_execz .LBB0_21
; %bb.19:
	s_delay_alu instid0(VALU_DEP_2)
	v_div_scale_f64 v[5:6], null, v[3:4], v[3:4], 1.0
	s_lshl_b64 s[0:1], s[8:9], 3
	v_lshlrev_b64_e32 v[0:1], 3, v[1:2]
	s_wait_alu 0xfffe
	s_add_nc_u64 s[0:1], s[10:11], s[0:1]
	s_mov_b32 s8, 0
	s_load_b64 s[2:3], s[0:1], 0x0
	s_lshl_b32 s1, s15, 3
	v_rcp_f64_e32 v[8:9], v[5:6]
	s_delay_alu instid0(TRANS32_DEP_1) | instskip(NEXT) | instid1(VALU_DEP_1)
	v_fma_f64 v[10:11], -v[5:6], v[8:9], 1.0
	v_fma_f64 v[8:9], v[8:9], v[10:11], v[8:9]
	s_delay_alu instid0(VALU_DEP_1) | instskip(NEXT) | instid1(VALU_DEP_1)
	v_fma_f64 v[10:11], -v[5:6], v[8:9], 1.0
	v_fma_f64 v[8:9], v[8:9], v[10:11], v[8:9]
	v_div_scale_f64 v[10:11], vcc_lo, 1.0, v[3:4], 1.0
	s_delay_alu instid0(VALU_DEP_1) | instskip(NEXT) | instid1(VALU_DEP_1)
	v_mul_f64_e32 v[12:13], v[10:11], v[8:9]
	v_fma_f64 v[5:6], -v[5:6], v[12:13], v[10:11]
	s_wait_alu 0xfffd
	s_delay_alu instid0(VALU_DEP_1) | instskip(NEXT) | instid1(VALU_DEP_1)
	v_div_fmas_f64 v[5:6], v[5:6], v[8:9], v[12:13]
	v_div_fixup_f64 v[3:4], v[5:6], v[3:4], 1.0
.LBB0_20:                               ; =>This Inner Loop Header: Depth=1
	v_add_co_u32 v5, vcc_lo, s6, v0
	s_wait_alu 0xfffd
	v_add_co_ci_u32_e64 v6, null, s7, v1, vcc_lo
	v_add_nc_u32_e32 v7, s15, v7
	v_add_co_u32 v8, vcc_lo, s4, v0
	global_load_b64 v[5:6], v[5:6], off
	s_wait_alu 0xfffd
	v_add_co_ci_u32_e64 v9, null, s5, v1, vcc_lo
	v_cmp_le_i32_e32 vcc_lo, s14, v7
	s_wait_alu 0xfffe
	v_add_co_u32 v0, s0, v0, s1
	s_wait_alu 0xf1ff
	v_add_co_ci_u32_e64 v1, null, 0, v1, s0
	s_or_b32 s8, vcc_lo, s8
	s_wait_loadcnt 0x0
	s_wait_kmcnt 0x0
	v_mul_f64_e32 v[5:6], s[2:3], v[5:6]
	s_delay_alu instid0(VALU_DEP_1)
	v_mul_f64_e32 v[5:6], v[3:4], v[5:6]
	global_store_b64 v[8:9], v[5:6], off
	s_and_not1_b32 exec_lo, exec_lo, s8
	s_cbranch_execnz .LBB0_20
.LBB0_21:
	s_endpgm
	.section	.rodata,"a",@progbits
	.p2align	6, 0x0
	.amdhsa_kernel _ZN2at6native12_GLOBAL__N_132weight_norm_fwd_first_dim_kernelIddEEvPT_PT0_PKS3_S8_i
		.amdhsa_group_segment_fixed_size 0
		.amdhsa_private_segment_fixed_size 0
		.amdhsa_kernarg_size 296
		.amdhsa_user_sgpr_count 2
		.amdhsa_user_sgpr_dispatch_ptr 0
		.amdhsa_user_sgpr_queue_ptr 0
		.amdhsa_user_sgpr_kernarg_segment_ptr 1
		.amdhsa_user_sgpr_dispatch_id 0
		.amdhsa_user_sgpr_private_segment_size 0
		.amdhsa_wavefront_size32 1
		.amdhsa_uses_dynamic_stack 0
		.amdhsa_enable_private_segment 0
		.amdhsa_system_sgpr_workgroup_id_x 1
		.amdhsa_system_sgpr_workgroup_id_y 0
		.amdhsa_system_sgpr_workgroup_id_z 0
		.amdhsa_system_sgpr_workgroup_info 0
		.amdhsa_system_vgpr_workitem_id 1
		.amdhsa_next_free_vgpr 14
		.amdhsa_next_free_sgpr 18
		.amdhsa_reserve_vcc 1
		.amdhsa_float_round_mode_32 0
		.amdhsa_float_round_mode_16_64 0
		.amdhsa_float_denorm_mode_32 3
		.amdhsa_float_denorm_mode_16_64 3
		.amdhsa_fp16_overflow 0
		.amdhsa_workgroup_processor_mode 1
		.amdhsa_memory_ordered 1
		.amdhsa_forward_progress 1
		.amdhsa_inst_pref_size 11
		.amdhsa_round_robin_scheduling 0
		.amdhsa_exception_fp_ieee_invalid_op 0
		.amdhsa_exception_fp_denorm_src 0
		.amdhsa_exception_fp_ieee_div_zero 0
		.amdhsa_exception_fp_ieee_overflow 0
		.amdhsa_exception_fp_ieee_underflow 0
		.amdhsa_exception_fp_ieee_inexact 0
		.amdhsa_exception_int_div_zero 0
	.end_amdhsa_kernel
	.section	.text._ZN2at6native12_GLOBAL__N_132weight_norm_fwd_first_dim_kernelIddEEvPT_PT0_PKS3_S8_i,"axG",@progbits,_ZN2at6native12_GLOBAL__N_132weight_norm_fwd_first_dim_kernelIddEEvPT_PT0_PKS3_S8_i,comdat
.Lfunc_end0:
	.size	_ZN2at6native12_GLOBAL__N_132weight_norm_fwd_first_dim_kernelIddEEvPT_PT0_PKS3_S8_i, .Lfunc_end0-_ZN2at6native12_GLOBAL__N_132weight_norm_fwd_first_dim_kernelIddEEvPT_PT0_PKS3_S8_i
                                        ; -- End function
	.set _ZN2at6native12_GLOBAL__N_132weight_norm_fwd_first_dim_kernelIddEEvPT_PT0_PKS3_S8_i.num_vgpr, 14
	.set _ZN2at6native12_GLOBAL__N_132weight_norm_fwd_first_dim_kernelIddEEvPT_PT0_PKS3_S8_i.num_agpr, 0
	.set _ZN2at6native12_GLOBAL__N_132weight_norm_fwd_first_dim_kernelIddEEvPT_PT0_PKS3_S8_i.numbered_sgpr, 18
	.set _ZN2at6native12_GLOBAL__N_132weight_norm_fwd_first_dim_kernelIddEEvPT_PT0_PKS3_S8_i.num_named_barrier, 0
	.set _ZN2at6native12_GLOBAL__N_132weight_norm_fwd_first_dim_kernelIddEEvPT_PT0_PKS3_S8_i.private_seg_size, 0
	.set _ZN2at6native12_GLOBAL__N_132weight_norm_fwd_first_dim_kernelIddEEvPT_PT0_PKS3_S8_i.uses_vcc, 1
	.set _ZN2at6native12_GLOBAL__N_132weight_norm_fwd_first_dim_kernelIddEEvPT_PT0_PKS3_S8_i.uses_flat_scratch, 0
	.set _ZN2at6native12_GLOBAL__N_132weight_norm_fwd_first_dim_kernelIddEEvPT_PT0_PKS3_S8_i.has_dyn_sized_stack, 0
	.set _ZN2at6native12_GLOBAL__N_132weight_norm_fwd_first_dim_kernelIddEEvPT_PT0_PKS3_S8_i.has_recursion, 0
	.set _ZN2at6native12_GLOBAL__N_132weight_norm_fwd_first_dim_kernelIddEEvPT_PT0_PKS3_S8_i.has_indirect_call, 0
	.section	.AMDGPU.csdata,"",@progbits
; Kernel info:
; codeLenInByte = 1384
; TotalNumSgprs: 20
; NumVgprs: 14
; ScratchSize: 0
; MemoryBound: 0
; FloatMode: 240
; IeeeMode: 1
; LDSByteSize: 0 bytes/workgroup (compile time only)
; SGPRBlocks: 0
; VGPRBlocks: 1
; NumSGPRsForWavesPerEU: 20
; NumVGPRsForWavesPerEU: 14
; Occupancy: 16
; WaveLimiterHint : 0
; COMPUTE_PGM_RSRC2:SCRATCH_EN: 0
; COMPUTE_PGM_RSRC2:USER_SGPR: 2
; COMPUTE_PGM_RSRC2:TRAP_HANDLER: 0
; COMPUTE_PGM_RSRC2:TGID_X_EN: 1
; COMPUTE_PGM_RSRC2:TGID_Y_EN: 0
; COMPUTE_PGM_RSRC2:TGID_Z_EN: 0
; COMPUTE_PGM_RSRC2:TIDIG_COMP_CNT: 1
	.section	.text._ZN2at6native12_GLOBAL__N_132weight_norm_fwd_first_dim_kernelIffEEvPT_PT0_PKS3_S8_i,"axG",@progbits,_ZN2at6native12_GLOBAL__N_132weight_norm_fwd_first_dim_kernelIffEEvPT_PT0_PKS3_S8_i,comdat
	.globl	_ZN2at6native12_GLOBAL__N_132weight_norm_fwd_first_dim_kernelIffEEvPT_PT0_PKS3_S8_i ; -- Begin function _ZN2at6native12_GLOBAL__N_132weight_norm_fwd_first_dim_kernelIffEEvPT_PT0_PKS3_S8_i
	.p2align	8
	.type	_ZN2at6native12_GLOBAL__N_132weight_norm_fwd_first_dim_kernelIffEEvPT_PT0_PKS3_S8_i,@function
_ZN2at6native12_GLOBAL__N_132weight_norm_fwd_first_dim_kernelIffEEvPT_PT0_PKS3_S8_i: ; @_ZN2at6native12_GLOBAL__N_132weight_norm_fwd_first_dim_kernelIffEEvPT_PT0_PKS3_S8_i
; %bb.0:
	s_clause 0x3
	s_load_b32 s14, s[0:1], 0x20
	s_load_b32 s3, s[0:1], 0x34
	s_load_b64 s[4:5], s[0:1], 0x0
	s_load_b64 s[6:7], s[0:1], 0x10
	v_dual_mov_b32 v6, 0 :: v_dual_and_b32 v5, 0x3ff, v0
	s_mov_b32 s8, ttmp9
	s_wait_kmcnt 0x0
	s_mul_i32 s2, s14, ttmp9
	s_and_b32 s15, s3, 0xffff
	v_add_nc_u32_e32 v1, s2, v5
	v_cmp_gt_i32_e64 s2, s14, v5
	s_delay_alu instid0(VALU_DEP_2)
	v_ashrrev_i32_e32 v2, 31, v1
	s_and_saveexec_b32 s9, s2
	s_cbranch_execz .LBB1_4
; %bb.1:
	s_delay_alu instid0(VALU_DEP_1) | instskip(SKIP_3) | instid1(VALU_DEP_2)
	v_lshlrev_b64_e32 v[3:4], 2, v[1:2]
	v_dual_mov_b32 v6, 0 :: v_dual_mov_b32 v7, v5
	s_lshl_b32 s11, s15, 2
	s_mov_b32 s10, 0
	v_add_co_u32 v3, vcc_lo, s6, v3
	s_delay_alu instid0(VALU_DEP_1)
	v_add_co_ci_u32_e64 v4, null, s7, v4, vcc_lo
.LBB1_2:                                ; =>This Inner Loop Header: Depth=1
	global_load_b32 v8, v[3:4], off
	v_add_nc_u32_e32 v7, s15, v7
	v_add_co_u32 v3, vcc_lo, v3, s11
	s_wait_alu 0xfffd
	v_add_co_ci_u32_e64 v4, null, 0, v4, vcc_lo
	s_wait_loadcnt 0x0
	v_fmac_f32_e32 v6, v8, v8
	v_cmp_le_i32_e64 s3, s14, v7
	s_or_b32 s10, s3, s10
	s_wait_alu 0xfffe
	s_and_not1_b32 exec_lo, exec_lo, s10
	s_cbranch_execnz .LBB1_2
; %bb.3:
	s_or_b32 exec_lo, exec_lo, s10
.LBB1_4:
	s_delay_alu instid0(SALU_CYCLE_1)
	s_or_b32 exec_lo, exec_lo, s9
	s_clause 0x1
	s_load_b64 s[12:13], s[0:1], 0x8
	s_load_b64 s[10:11], s[0:1], 0x18
	s_add_nc_u64 s[0:1], s[0:1], 40
	v_bfe_u32 v0, v0, 10, 10
	s_load_u16 s0, s[0:1], 0xe
	s_delay_alu instid0(VALU_DEP_1) | instskip(SKIP_2) | instid1(SALU_CYCLE_1)
	v_mad_u32_u24 v0, v0, s15, v5
	s_wait_kmcnt 0x0
	s_mul_i32 s0, s0, s15
	s_cmp_gt_i32 s0, 63
	s_cselect_b32 s1, -1, 0
	s_cmp_lt_i32 s0, 64
	s_cbranch_scc1 .LBB1_6
; %bb.5:
	v_lshl_add_u32 v3, v0, 2, 0
	ds_store_b32 v3, v6
	s_wait_dscnt 0x0
	s_barrier_signal -1
	s_barrier_wait -1
	global_inv scope:SCOPE_SE
.LBB1_6:
	s_ashr_i32 s0, s0, 1
	s_delay_alu instid0(SALU_CYCLE_1)
	s_cmp_lt_i32 s0, 64
	s_cbranch_scc1 .LBB1_11
; %bb.7:
	v_lshl_add_u32 v3, v0, 2, 0
	s_branch .LBB1_9
.LBB1_8:                                ;   in Loop: Header=BB1_9 Depth=1
	s_wait_alu 0xfffe
	s_or_b32 exec_lo, exec_lo, s3
	s_lshr_b32 s3, s0, 1
	s_cmp_lt_u32 s0, 0x80
	s_wait_alu 0xfffe
	s_mov_b32 s0, s3
	s_wait_loadcnt_dscnt 0x0
	s_barrier_signal -1
	s_barrier_wait -1
	global_inv scope:SCOPE_SE
	s_cbranch_scc1 .LBB1_11
.LBB1_9:                                ; =>This Inner Loop Header: Depth=1
	s_mov_b32 s3, exec_lo
	s_wait_alu 0xfffe
	v_cmpx_gt_i32_e64 s0, v0
	s_cbranch_execz .LBB1_8
; %bb.10:                               ;   in Loop: Header=BB1_9 Depth=1
	v_lshl_add_u32 v4, s0, 2, v3
	ds_load_b32 v7, v3
	ds_load_b32 v4, v4
	s_wait_dscnt 0x0
	v_add_f32_e32 v4, v7, v4
	ds_store_b32 v3, v4
	s_branch .LBB1_8
.LBB1_11:
	s_mov_b32 s0, exec_lo
	v_cmpx_gt_u32_e32 32, v0
	s_cbranch_execz .LBB1_16
; %bb.12:
	s_and_not1_b32 vcc_lo, exec_lo, s1
	s_wait_alu 0xfffe
	s_cbranch_vccnz .LBB1_14
; %bb.13:
	v_lshl_add_u32 v3, v0, 2, 0
	ds_load_2addr_b32 v[3:4], v3 offset1:32
	s_wait_dscnt 0x0
	v_add_f32_e32 v6, v3, v4
.LBB1_14:
	v_mbcnt_lo_u32_b32 v3, -1, 0
	s_delay_alu instid0(VALU_DEP_1)
	v_lshl_or_b32 v4, v3, 2, 64
	v_cmp_gt_u32_e32 vcc_lo, 24, v3
	ds_bpermute_b32 v4, v4, v6
	s_wait_alu 0xfffd
	v_cndmask_b32_e64 v7, 0, 8, vcc_lo
	v_cmp_gt_u32_e32 vcc_lo, 28, v3
	s_delay_alu instid0(VALU_DEP_2)
	v_add_lshl_u32 v7, v7, v3, 2
	s_wait_dscnt 0x0
	v_add_f32_e32 v4, v6, v4
	ds_bpermute_b32 v6, v7, v4
	s_wait_alu 0xfffd
	v_cndmask_b32_e64 v7, 0, 4, vcc_lo
	v_cmp_gt_u32_e32 vcc_lo, 30, v3
	s_delay_alu instid0(VALU_DEP_2)
	v_add_lshl_u32 v7, v7, v3, 2
	s_wait_dscnt 0x0
	v_add_f32_e32 v4, v4, v6
	ds_bpermute_b32 v6, v7, v4
	s_wait_alu 0xfffd
	v_cndmask_b32_e64 v7, 0, 2, vcc_lo
	v_cmp_ne_u32_e32 vcc_lo, 31, v3
	s_delay_alu instid0(VALU_DEP_2)
	v_add_lshl_u32 v7, v7, v3, 2
	s_wait_dscnt 0x0
	v_add_f32_e32 v4, v4, v6
	ds_bpermute_b32 v6, v7, v4
	s_wait_alu 0xfffd
	v_add_co_ci_u32_e64 v7, null, 0, v3, vcc_lo
	v_cmp_eq_u32_e32 vcc_lo, 0, v0
	s_wait_dscnt 0x0
	s_delay_alu instid0(VALU_DEP_2)
	v_dual_add_f32 v3, v4, v6 :: v_dual_lshlrev_b32 v4, 2, v7
	ds_bpermute_b32 v4, v4, v3
	s_and_b32 exec_lo, exec_lo, vcc_lo
	s_cbranch_execz .LBB1_16
; %bb.15:
	s_wait_dscnt 0x0
	v_dual_add_f32 v0, v3, v4 :: v_dual_mov_b32 v3, 0
	ds_store_b32 v3, v0
.LBB1_16:
	s_wait_alu 0xfffe
	s_or_b32 exec_lo, exec_lo, s0
	v_mov_b32_e32 v0, 0
	s_wait_loadcnt_dscnt 0x0
	s_barrier_signal -1
	s_barrier_wait -1
	global_inv scope:SCOPE_SE
	ds_load_b32 v3, v0
	s_wait_dscnt 0x0
	v_readfirstlane_b32 s0, v3
	v_cmp_gt_f32_e32 vcc_lo, 0xf800000, v3
	s_mul_f32 s1, s0, 0x4f800000
	s_cmp_lt_f32 s0, 0xf800000
	s_wait_alu 0xfffe
	s_delay_alu instid0(SALU_CYCLE_1) | instskip(SKIP_3) | instid1(TRANS32_DEP_1)
	s_cselect_b32 s0, s1, s0
	s_wait_alu 0xfffe
	v_s_sqrt_f32 s1, s0
	s_mov_b32 s9, s0
	s_add_co_i32 s3, s1, -1
	s_wait_alu 0xfffe
	s_xor_b32 s16, s3, 0x80000000
	s_delay_alu instid0(SALU_CYCLE_1) | instskip(SKIP_1) | instid1(SALU_CYCLE_2)
	s_fmac_f32 s9, s16, s1
	s_mov_b32 s16, s0
	s_cmp_le_f32 s9, 0
	s_cselect_b32 s3, s3, s1
	s_add_co_i32 s9, s1, 1
	s_delay_alu instid0(SALU_CYCLE_1) | instskip(NEXT) | instid1(SALU_CYCLE_1)
	s_xor_b32 s17, s9, 0x80000000
	s_fmac_f32 s16, s17, s1
	s_delay_alu instid0(SALU_CYCLE_3)
	s_cmp_gt_f32 s16, 0
	s_wait_alu 0xfffe
	s_cselect_b32 s1, s9, s3
	s_ashr_i32 s9, s8, 31
	s_wait_alu 0xfffe
	s_mul_f32 s3, s1, 0x37800000
	s_wait_alu 0xfffe
	s_delay_alu instid0(SALU_CYCLE_2) | instskip(SKIP_1) | instid1(VALU_DEP_1)
	v_mov_b32_e32 v4, s3
	s_wait_alu 0xfffd
	v_cndmask_b32_e32 v3, s1, v4, vcc_lo
	v_cmp_class_f32_e64 s1, s0, 0x260
	s_wait_alu 0xf1ff
	s_delay_alu instid0(VALU_DEP_1)
	v_cndmask_b32_e64 v3, v3, s0, s1
	s_mov_b32 s0, exec_lo
	v_cmpx_eq_u32_e32 0, v5
	s_cbranch_execz .LBB1_18
; %bb.17:
	s_lshl_b64 s[16:17], s[8:9], 2
	s_delay_alu instid0(SALU_CYCLE_1)
	s_add_nc_u64 s[12:13], s[12:13], s[16:17]
	global_store_b32 v0, v3, s[12:13]
.LBB1_18:
	s_wait_alu 0xfffe
	s_or_b32 exec_lo, exec_lo, s0
	s_and_saveexec_b32 s0, s2
	s_cbranch_execz .LBB1_21
; %bb.19:
	v_div_scale_f32 v0, null, v3, v3, 1.0
	s_lshl_b64 s[0:1], s[8:9], 2
	s_lshl_b32 s2, s15, 2
	s_wait_alu 0xfffe
	s_add_nc_u64 s[0:1], s[10:11], s[0:1]
	v_rcp_f32_e32 v4, v0
	v_xor_b32_e32 v0, 0x80000000, v0
	s_load_b32 s1, s[0:1], 0x0
	s_mov_b32 s3, 0
	s_delay_alu instid0(TRANS32_DEP_1) | instid1(VALU_DEP_1)
	v_fma_f32 v6, v0, v4, 1.0
	s_delay_alu instid0(VALU_DEP_1) | instskip(SKIP_1) | instid1(VALU_DEP_1)
	v_fmac_f32_e32 v4, v6, v4
	v_div_scale_f32 v6, vcc_lo, 1.0, v3, 1.0
	v_mul_f32_e32 v7, v6, v4
	s_delay_alu instid0(VALU_DEP_1) | instskip(NEXT) | instid1(VALU_DEP_1)
	v_fma_f32 v8, v0, v7, v6
	v_fmac_f32_e32 v7, v8, v4
	s_delay_alu instid0(VALU_DEP_1) | instskip(SKIP_2) | instid1(VALU_DEP_2)
	v_fmac_f32_e32 v6, v0, v7
	v_lshlrev_b64_e32 v[0:1], 2, v[1:2]
	s_wait_alu 0xfffd
	v_div_fmas_f32 v4, v6, v4, v7
	s_delay_alu instid0(VALU_DEP_1)
	v_div_fixup_f32 v2, v4, v3, 1.0
.LBB1_20:                               ; =>This Inner Loop Header: Depth=1
	s_delay_alu instid0(VALU_DEP_3)
	v_add_co_u32 v3, vcc_lo, s6, v0
	s_wait_alu 0xfffd
	v_add_co_ci_u32_e64 v4, null, s7, v1, vcc_lo
	global_load_b32 v6, v[3:4], off
	v_add_nc_u32_e32 v5, s15, v5
	v_add_co_u32 v3, vcc_lo, s4, v0
	s_wait_alu 0xfffd
	v_add_co_ci_u32_e64 v4, null, s5, v1, vcc_lo
	v_add_co_u32 v0, vcc_lo, v0, s2
	s_wait_alu 0xfffd
	v_add_co_ci_u32_e64 v1, null, 0, v1, vcc_lo
	s_wait_loadcnt 0x0
	s_wait_kmcnt 0x0
	v_mul_f32_e32 v6, s1, v6
	v_cmp_le_i32_e64 s0, s14, v5
	s_delay_alu instid0(VALU_DEP_2)
	v_mul_f32_e32 v6, v2, v6
	s_wait_alu 0xfffe
	s_or_b32 s3, s0, s3
	global_store_b32 v[3:4], v6, off
	s_wait_alu 0xfffe
	s_and_not1_b32 exec_lo, exec_lo, s3
	s_cbranch_execnz .LBB1_20
.LBB1_21:
	s_endpgm
	.section	.rodata,"a",@progbits
	.p2align	6, 0x0
	.amdhsa_kernel _ZN2at6native12_GLOBAL__N_132weight_norm_fwd_first_dim_kernelIffEEvPT_PT0_PKS3_S8_i
		.amdhsa_group_segment_fixed_size 0
		.amdhsa_private_segment_fixed_size 0
		.amdhsa_kernarg_size 296
		.amdhsa_user_sgpr_count 2
		.amdhsa_user_sgpr_dispatch_ptr 0
		.amdhsa_user_sgpr_queue_ptr 0
		.amdhsa_user_sgpr_kernarg_segment_ptr 1
		.amdhsa_user_sgpr_dispatch_id 0
		.amdhsa_user_sgpr_private_segment_size 0
		.amdhsa_wavefront_size32 1
		.amdhsa_uses_dynamic_stack 0
		.amdhsa_enable_private_segment 0
		.amdhsa_system_sgpr_workgroup_id_x 1
		.amdhsa_system_sgpr_workgroup_id_y 0
		.amdhsa_system_sgpr_workgroup_id_z 0
		.amdhsa_system_sgpr_workgroup_info 0
		.amdhsa_system_vgpr_workitem_id 1
		.amdhsa_next_free_vgpr 9
		.amdhsa_next_free_sgpr 18
		.amdhsa_reserve_vcc 1
		.amdhsa_float_round_mode_32 0
		.amdhsa_float_round_mode_16_64 0
		.amdhsa_float_denorm_mode_32 3
		.amdhsa_float_denorm_mode_16_64 3
		.amdhsa_fp16_overflow 0
		.amdhsa_workgroup_processor_mode 1
		.amdhsa_memory_ordered 1
		.amdhsa_forward_progress 1
		.amdhsa_inst_pref_size 11
		.amdhsa_round_robin_scheduling 0
		.amdhsa_exception_fp_ieee_invalid_op 0
		.amdhsa_exception_fp_denorm_src 0
		.amdhsa_exception_fp_ieee_div_zero 0
		.amdhsa_exception_fp_ieee_overflow 0
		.amdhsa_exception_fp_ieee_underflow 0
		.amdhsa_exception_fp_ieee_inexact 0
		.amdhsa_exception_int_div_zero 0
	.end_amdhsa_kernel
	.section	.text._ZN2at6native12_GLOBAL__N_132weight_norm_fwd_first_dim_kernelIffEEvPT_PT0_PKS3_S8_i,"axG",@progbits,_ZN2at6native12_GLOBAL__N_132weight_norm_fwd_first_dim_kernelIffEEvPT_PT0_PKS3_S8_i,comdat
.Lfunc_end1:
	.size	_ZN2at6native12_GLOBAL__N_132weight_norm_fwd_first_dim_kernelIffEEvPT_PT0_PKS3_S8_i, .Lfunc_end1-_ZN2at6native12_GLOBAL__N_132weight_norm_fwd_first_dim_kernelIffEEvPT_PT0_PKS3_S8_i
                                        ; -- End function
	.set _ZN2at6native12_GLOBAL__N_132weight_norm_fwd_first_dim_kernelIffEEvPT_PT0_PKS3_S8_i.num_vgpr, 9
	.set _ZN2at6native12_GLOBAL__N_132weight_norm_fwd_first_dim_kernelIffEEvPT_PT0_PKS3_S8_i.num_agpr, 0
	.set _ZN2at6native12_GLOBAL__N_132weight_norm_fwd_first_dim_kernelIffEEvPT_PT0_PKS3_S8_i.numbered_sgpr, 18
	.set _ZN2at6native12_GLOBAL__N_132weight_norm_fwd_first_dim_kernelIffEEvPT_PT0_PKS3_S8_i.num_named_barrier, 0
	.set _ZN2at6native12_GLOBAL__N_132weight_norm_fwd_first_dim_kernelIffEEvPT_PT0_PKS3_S8_i.private_seg_size, 0
	.set _ZN2at6native12_GLOBAL__N_132weight_norm_fwd_first_dim_kernelIffEEvPT_PT0_PKS3_S8_i.uses_vcc, 1
	.set _ZN2at6native12_GLOBAL__N_132weight_norm_fwd_first_dim_kernelIffEEvPT_PT0_PKS3_S8_i.uses_flat_scratch, 0
	.set _ZN2at6native12_GLOBAL__N_132weight_norm_fwd_first_dim_kernelIffEEvPT_PT0_PKS3_S8_i.has_dyn_sized_stack, 0
	.set _ZN2at6native12_GLOBAL__N_132weight_norm_fwd_first_dim_kernelIffEEvPT_PT0_PKS3_S8_i.has_recursion, 0
	.set _ZN2at6native12_GLOBAL__N_132weight_norm_fwd_first_dim_kernelIffEEvPT_PT0_PKS3_S8_i.has_indirect_call, 0
	.section	.AMDGPU.csdata,"",@progbits
; Kernel info:
; codeLenInByte = 1332
; TotalNumSgprs: 20
; NumVgprs: 9
; ScratchSize: 0
; MemoryBound: 0
; FloatMode: 240
; IeeeMode: 1
; LDSByteSize: 0 bytes/workgroup (compile time only)
; SGPRBlocks: 0
; VGPRBlocks: 1
; NumSGPRsForWavesPerEU: 20
; NumVGPRsForWavesPerEU: 9
; Occupancy: 16
; WaveLimiterHint : 0
; COMPUTE_PGM_RSRC2:SCRATCH_EN: 0
; COMPUTE_PGM_RSRC2:USER_SGPR: 2
; COMPUTE_PGM_RSRC2:TRAP_HANDLER: 0
; COMPUTE_PGM_RSRC2:TGID_X_EN: 1
; COMPUTE_PGM_RSRC2:TGID_Y_EN: 0
; COMPUTE_PGM_RSRC2:TGID_Z_EN: 0
; COMPUTE_PGM_RSRC2:TIDIG_COMP_CNT: 1
	.section	.text._ZN2at6native12_GLOBAL__N_132weight_norm_fwd_first_dim_kernelIN3c108BFloat16EfEEvPT_PT0_PKS5_SA_i,"axG",@progbits,_ZN2at6native12_GLOBAL__N_132weight_norm_fwd_first_dim_kernelIN3c108BFloat16EfEEvPT_PT0_PKS5_SA_i,comdat
	.globl	_ZN2at6native12_GLOBAL__N_132weight_norm_fwd_first_dim_kernelIN3c108BFloat16EfEEvPT_PT0_PKS5_SA_i ; -- Begin function _ZN2at6native12_GLOBAL__N_132weight_norm_fwd_first_dim_kernelIN3c108BFloat16EfEEvPT_PT0_PKS5_SA_i
	.p2align	8
	.type	_ZN2at6native12_GLOBAL__N_132weight_norm_fwd_first_dim_kernelIN3c108BFloat16EfEEvPT_PT0_PKS5_SA_i,@function
_ZN2at6native12_GLOBAL__N_132weight_norm_fwd_first_dim_kernelIN3c108BFloat16EfEEvPT_PT0_PKS5_SA_i: ; @_ZN2at6native12_GLOBAL__N_132weight_norm_fwd_first_dim_kernelIN3c108BFloat16EfEEvPT_PT0_PKS5_SA_i
; %bb.0:
	s_clause 0x3
	s_load_b32 s14, s[0:1], 0x20
	s_load_b32 s3, s[0:1], 0x34
	s_load_b64 s[4:5], s[0:1], 0x0
	s_load_b64 s[6:7], s[0:1], 0x10
	v_dual_mov_b32 v4, 0 :: v_dual_and_b32 v3, 0x3ff, v0
	s_mov_b32 s8, ttmp9
	s_wait_kmcnt 0x0
	s_delay_alu instid0(VALU_DEP_1)
	v_cmp_gt_i32_e64 s2, s14, v3
	s_and_b32 s15, s3, 0xffff
	s_mul_i32 s16, s14, ttmp9
	s_and_saveexec_b32 s9, s2
	s_cbranch_execz .LBB2_4
; %bb.1:
	v_dual_mov_b32 v4, 0 :: v_dual_add_nc_u32 v1, s16, v3
	v_mov_b32_e32 v5, v3
	s_wait_alu 0xfffe
	s_lshl_b32 s11, s15, 1
	s_mov_b32 s10, 0
	v_ashrrev_i32_e32 v2, 31, v1
	s_delay_alu instid0(VALU_DEP_1) | instskip(NEXT) | instid1(VALU_DEP_1)
	v_lshlrev_b64_e32 v[1:2], 1, v[1:2]
	v_add_co_u32 v1, vcc_lo, s6, v1
	s_delay_alu instid0(VALU_DEP_1)
	v_add_co_ci_u32_e64 v2, null, s7, v2, vcc_lo
.LBB2_2:                                ; =>This Inner Loop Header: Depth=1
	global_load_u16 v6, v[1:2], off
	v_add_co_u32 v1, vcc_lo, v1, s11
	s_wait_alu 0xfffd
	v_add_co_ci_u32_e64 v2, null, 0, v2, vcc_lo
	s_wait_loadcnt 0x0
	v_lshlrev_b32_e32 v6, 16, v6
	s_delay_alu instid0(VALU_DEP_1) | instskip(NEXT) | instid1(VALU_DEP_1)
	v_dual_fmac_f32 v4, v6, v6 :: v_dual_add_nc_u32 v5, s15, v5
	v_cmp_le_i32_e64 s3, s14, v5
	s_or_b32 s10, s3, s10
	s_wait_alu 0xfffe
	s_and_not1_b32 exec_lo, exec_lo, s10
	s_cbranch_execnz .LBB2_2
; %bb.3:
	s_or_b32 exec_lo, exec_lo, s10
.LBB2_4:
	s_delay_alu instid0(SALU_CYCLE_1)
	s_or_b32 exec_lo, exec_lo, s9
	s_clause 0x1
	s_load_b64 s[12:13], s[0:1], 0x8
	s_load_b64 s[10:11], s[0:1], 0x18
	s_add_nc_u64 s[0:1], s[0:1], 40
	v_bfe_u32 v0, v0, 10, 10
	s_load_u16 s0, s[0:1], 0xe
	s_delay_alu instid0(VALU_DEP_1) | instskip(SKIP_2) | instid1(SALU_CYCLE_1)
	v_mad_u32_u24 v0, v0, s15, v3
	s_wait_kmcnt 0x0
	s_mul_i32 s0, s0, s15
	s_cmp_gt_i32 s0, 63
	s_cselect_b32 s1, -1, 0
	s_cmp_lt_i32 s0, 64
	s_cbranch_scc1 .LBB2_6
; %bb.5:
	v_lshl_add_u32 v1, v0, 2, 0
	ds_store_b32 v1, v4
	s_wait_dscnt 0x0
	s_barrier_signal -1
	s_barrier_wait -1
	global_inv scope:SCOPE_SE
.LBB2_6:
	s_ashr_i32 s0, s0, 1
	s_delay_alu instid0(SALU_CYCLE_1)
	s_cmp_lt_i32 s0, 64
	s_cbranch_scc1 .LBB2_11
; %bb.7:
	v_lshl_add_u32 v1, v0, 2, 0
	s_branch .LBB2_9
.LBB2_8:                                ;   in Loop: Header=BB2_9 Depth=1
	s_or_b32 exec_lo, exec_lo, s3
	s_lshr_b32 s3, s0, 1
	s_cmp_lt_u32 s0, 0x80
	s_mov_b32 s0, s3
	s_wait_loadcnt_dscnt 0x0
	s_barrier_signal -1
	s_barrier_wait -1
	global_inv scope:SCOPE_SE
	s_cbranch_scc1 .LBB2_11
.LBB2_9:                                ; =>This Inner Loop Header: Depth=1
	s_mov_b32 s3, exec_lo
	s_wait_alu 0xfffe
	v_cmpx_gt_i32_e64 s0, v0
	s_cbranch_execz .LBB2_8
; %bb.10:                               ;   in Loop: Header=BB2_9 Depth=1
	v_lshl_add_u32 v2, s0, 2, v1
	ds_load_b32 v5, v1
	ds_load_b32 v2, v2
	s_wait_dscnt 0x0
	v_add_f32_e32 v2, v5, v2
	ds_store_b32 v1, v2
	s_branch .LBB2_8
.LBB2_11:
	s_mov_b32 s0, exec_lo
	v_cmpx_gt_u32_e32 32, v0
	s_cbranch_execz .LBB2_16
; %bb.12:
	s_and_not1_b32 vcc_lo, exec_lo, s1
	s_wait_alu 0xfffe
	s_cbranch_vccnz .LBB2_14
; %bb.13:
	v_lshl_add_u32 v1, v0, 2, 0
	ds_load_2addr_b32 v[1:2], v1 offset1:32
	s_wait_dscnt 0x0
	v_add_f32_e32 v4, v1, v2
.LBB2_14:
	v_mbcnt_lo_u32_b32 v1, -1, 0
	s_delay_alu instid0(VALU_DEP_1)
	v_lshl_or_b32 v2, v1, 2, 64
	v_cmp_gt_u32_e32 vcc_lo, 24, v1
	ds_bpermute_b32 v2, v2, v4
	s_wait_alu 0xfffd
	v_cndmask_b32_e64 v5, 0, 8, vcc_lo
	v_cmp_gt_u32_e32 vcc_lo, 28, v1
	s_delay_alu instid0(VALU_DEP_2)
	v_add_lshl_u32 v5, v5, v1, 2
	s_wait_dscnt 0x0
	v_add_f32_e32 v2, v4, v2
	ds_bpermute_b32 v4, v5, v2
	s_wait_alu 0xfffd
	v_cndmask_b32_e64 v5, 0, 4, vcc_lo
	v_cmp_gt_u32_e32 vcc_lo, 30, v1
	s_delay_alu instid0(VALU_DEP_2)
	v_add_lshl_u32 v5, v5, v1, 2
	s_wait_dscnt 0x0
	v_add_f32_e32 v2, v2, v4
	ds_bpermute_b32 v4, v5, v2
	s_wait_alu 0xfffd
	v_cndmask_b32_e64 v5, 0, 2, vcc_lo
	v_cmp_ne_u32_e32 vcc_lo, 31, v1
	s_delay_alu instid0(VALU_DEP_2)
	v_add_lshl_u32 v5, v5, v1, 2
	s_wait_dscnt 0x0
	v_add_f32_e32 v2, v2, v4
	ds_bpermute_b32 v4, v5, v2
	s_wait_alu 0xfffd
	v_add_co_ci_u32_e64 v5, null, 0, v1, vcc_lo
	v_cmp_eq_u32_e32 vcc_lo, 0, v0
	s_wait_dscnt 0x0
	s_delay_alu instid0(VALU_DEP_2)
	v_dual_add_f32 v1, v2, v4 :: v_dual_lshlrev_b32 v2, 2, v5
	ds_bpermute_b32 v2, v2, v1
	s_and_b32 exec_lo, exec_lo, vcc_lo
	s_cbranch_execz .LBB2_16
; %bb.15:
	s_wait_dscnt 0x0
	v_dual_add_f32 v0, v1, v2 :: v_dual_mov_b32 v1, 0
	ds_store_b32 v1, v0
.LBB2_16:
	s_wait_alu 0xfffe
	s_or_b32 exec_lo, exec_lo, s0
	v_mov_b32_e32 v1, 0
	s_wait_loadcnt_dscnt 0x0
	s_barrier_signal -1
	s_barrier_wait -1
	global_inv scope:SCOPE_SE
	ds_load_b32 v0, v1
	s_wait_dscnt 0x0
	v_readfirstlane_b32 s0, v0
	v_cmp_gt_f32_e32 vcc_lo, 0xf800000, v0
	s_mul_f32 s1, s0, 0x4f800000
	s_cmp_lt_f32 s0, 0xf800000
	s_wait_alu 0xfffe
	s_delay_alu instid0(SALU_CYCLE_1) | instskip(SKIP_3) | instid1(TRANS32_DEP_1)
	s_cselect_b32 s0, s1, s0
	s_wait_alu 0xfffe
	v_s_sqrt_f32 s1, s0
	s_mov_b32 s9, s0
	s_add_co_i32 s3, s1, -1
	s_delay_alu instid0(SALU_CYCLE_1) | instskip(SKIP_3) | instid1(SALU_CYCLE_2)
	s_xor_b32 s17, s3, 0x80000000
	s_wait_alu 0xfffe
	s_fmac_f32 s9, s17, s1
	s_mov_b32 s17, s0
	s_cmp_le_f32 s9, 0
	s_cselect_b32 s3, s3, s1
	s_add_co_i32 s9, s1, 1
	s_delay_alu instid0(SALU_CYCLE_1) | instskip(SKIP_3) | instid1(SALU_CYCLE_2)
	s_xor_b32 s18, s9, 0x80000000
	s_wait_alu 0xfffe
	s_fmac_f32 s17, s18, s1
	s_wait_alu 0xfffe
	s_cmp_gt_f32 s17, 0
	s_cselect_b32 s1, s9, s3
	s_ashr_i32 s9, s8, 31
	s_wait_alu 0xfffe
	s_mul_f32 s3, s1, 0x37800000
	s_delay_alu instid0(SALU_CYCLE_3) | instskip(SKIP_1) | instid1(VALU_DEP_1)
	v_mov_b32_e32 v2, s3
	s_wait_alu 0xfffd
	v_cndmask_b32_e32 v0, s1, v2, vcc_lo
	v_cmp_class_f32_e64 s1, s0, 0x260
	s_wait_alu 0xf1ff
	s_delay_alu instid0(VALU_DEP_1)
	v_cndmask_b32_e64 v0, v0, s0, s1
	s_mov_b32 s0, exec_lo
	v_cmpx_eq_u32_e32 0, v3
	s_cbranch_execz .LBB2_18
; %bb.17:
	s_lshl_b64 s[18:19], s[8:9], 2
	s_delay_alu instid0(SALU_CYCLE_1)
	s_add_nc_u64 s[12:13], s[12:13], s[18:19]
	global_store_b32 v1, v0, s[12:13]
.LBB2_18:
	s_wait_alu 0xfffe
	s_or_b32 exec_lo, exec_lo, s0
	s_and_saveexec_b32 s0, s2
	s_cbranch_execz .LBB2_26
; %bb.19:
	v_div_scale_f32 v1, null, v0, v0, 1.0
	v_div_scale_f32 v5, vcc_lo, 1.0, v0, 1.0
	s_lshl_b64 s[0:1], s[8:9], 1
	v_rcp_f32_e32 v2, v1
	v_xor_b32_e32 v1, 0x80000000, v1
	s_wait_alu 0xfffe
	s_add_nc_u64 s[0:1], s[10:11], s[0:1]
	v_add_nc_u32_e32 v7, 1, v3
	s_load_u16 s0, s[0:1], 0x0
	s_and_b32 s1, s15, 0xffff
	s_delay_alu instid0(TRANS32_DEP_1) | instskip(NEXT) | instid1(VALU_DEP_1)
	v_fma_f32 v4, v1, v2, 1.0
	v_fmac_f32_e32 v2, v4, v2
	s_delay_alu instid0(VALU_DEP_1) | instskip(SKIP_2) | instid1(VALU_DEP_1)
	v_mul_f32_e32 v6, v5, v2
	s_wait_kmcnt 0x0
	s_lshl_b32 s2, s0, 16
	v_fma_f32 v4, v1, v6, v5
	s_wait_alu 0xfffe
	s_cmp_eq_u32 s1, 1
	s_cselect_b32 s0, -1, 0
	s_delay_alu instid0(VALU_DEP_1) | instskip(SKIP_1) | instid1(VALU_DEP_2)
	v_fmac_f32_e32 v6, v4, v2
	v_max_i32_e32 v4, s14, v7
	v_fmac_f32_e32 v5, v1, v6
	s_delay_alu instid0(VALU_DEP_2) | instskip(NEXT) | instid1(VALU_DEP_2)
	v_sub_nc_u32_e32 v4, v4, v3
	v_div_fmas_f32 v1, v5, v2, v6
	s_delay_alu instid0(VALU_DEP_2) | instskip(NEXT) | instid1(VALU_DEP_2)
	v_cmp_lt_u32_e32 vcc_lo, 1, v4
	v_div_fixup_f32 v2, v1, v0, 1.0
	s_wait_alu 0xfffe
	s_and_b32 s3, vcc_lo, s0
	s_mov_b32 s0, -1
	s_wait_alu 0xfffe
	s_and_saveexec_b32 s1, s3
	s_cbranch_execz .LBB2_23
; %bb.20:
	v_and_b32_e32 v5, -2, v4
	v_add_nc_u32_e32 v0, s16, v3
	s_mov_b32 s8, s2
	s_mov_b32 s3, 0
	s_delay_alu instid0(VALU_DEP_2)
	v_mov_b32_e32 v6, v5
.LBB2_21:                               ; =>This Inner Loop Header: Depth=1
	s_delay_alu instid0(VALU_DEP_2) | instskip(NEXT) | instid1(VALU_DEP_2)
	v_ashrrev_i32_e32 v1, 31, v0
	v_add_nc_u32_e32 v6, -2, v6
	s_delay_alu instid0(VALU_DEP_2) | instskip(SKIP_1) | instid1(VALU_DEP_2)
	v_lshlrev_b64_e32 v[7:8], 1, v[0:1]
	v_add_nc_u32_e32 v0, 2, v0
	v_add_co_u32 v9, vcc_lo, s6, v7
	s_wait_alu 0xfffd
	s_delay_alu instid0(VALU_DEP_3)
	v_add_co_ci_u32_e64 v10, null, s7, v8, vcc_lo
	v_add_co_u32 v7, s0, s4, v7
	s_wait_alu 0xf1ff
	v_add_co_ci_u32_e64 v8, null, s5, v8, s0
	global_load_b32 v1, v[9:10], off
	s_wait_loadcnt 0x0
	v_lshlrev_b32_e32 v9, 16, v1
	v_and_b32_e32 v1, 0xffff0000, v1
	s_delay_alu instid0(VALU_DEP_2) | instskip(NEXT) | instid1(VALU_DEP_2)
	v_mul_f32_e32 v9, s2, v9
	v_mul_f32_e32 v1, s8, v1
	s_delay_alu instid0(VALU_DEP_2) | instskip(NEXT) | instid1(VALU_DEP_2)
	v_mul_f32_e32 v9, v2, v9
	v_mul_f32_e32 v1, v2, v1
	s_delay_alu instid0(VALU_DEP_2) | instskip(NEXT) | instid1(VALU_DEP_2)
	v_lshrrev_b32_e32 v10, 16, v9
	v_lshrrev_b32_e32 v11, 16, v1
	v_cmp_o_f32_e32 vcc_lo, v9, v9
	s_delay_alu instid0(VALU_DEP_3) | instskip(NEXT) | instid1(VALU_DEP_3)
	v_and_b32_e32 v10, 1, v10
	v_and_b32_e32 v11, 1, v11
	s_delay_alu instid0(VALU_DEP_2) | instskip(NEXT) | instid1(VALU_DEP_2)
	v_add3_u32 v10, v9, v10, 0x7fff
	v_add3_u32 v11, v1, v11, 0x7fff
	s_delay_alu instid0(VALU_DEP_2) | instskip(NEXT) | instid1(VALU_DEP_2)
	v_lshrrev_b32_e32 v10, 16, v10
	v_lshrrev_b32_e32 v11, 16, v11
	s_wait_alu 0xfffd
	s_delay_alu instid0(VALU_DEP_2) | instskip(SKIP_4) | instid1(VALU_DEP_2)
	v_cndmask_b32_e32 v9, 0x7fc0, v10, vcc_lo
	v_cmp_o_f32_e32 vcc_lo, v1, v1
	s_wait_alu 0xfffd
	v_cndmask_b32_e32 v1, 0x7fc0, v11, vcc_lo
	v_cmp_eq_u32_e32 vcc_lo, 0, v6
	v_perm_b32 v1, v1, v9, 0x5040100
	s_wait_alu 0xfffe
	s_or_b32 s3, vcc_lo, s3
	global_store_b32 v[7:8], v1, off
	s_wait_alu 0xfffe
	s_and_not1_b32 exec_lo, exec_lo, s3
	s_cbranch_execnz .LBB2_21
; %bb.22:
	s_or_b32 exec_lo, exec_lo, s3
	v_cmp_ne_u32_e32 vcc_lo, v4, v5
	v_add_nc_u32_e32 v3, v3, v5
	s_or_not1_b32 s0, vcc_lo, exec_lo
.LBB2_23:
	s_wait_alu 0xfffe
	s_or_b32 exec_lo, exec_lo, s1
	s_delay_alu instid0(SALU_CYCLE_1)
	s_and_b32 exec_lo, exec_lo, s0
	s_cbranch_execz .LBB2_26
; %bb.24:
	v_ashrrev_i32_e32 v1, 31, v3
	s_ashr_i32 s0, s16, 31
	v_add_co_u32 v0, vcc_lo, v3, s16
	s_lshl_b32 s3, s15, 1
	s_wait_alu 0xfffc
	v_add_co_ci_u32_e64 v1, null, s0, v1, vcc_lo
	s_mov_b32 s8, 0
	v_lshlrev_b64_e32 v[0:1], 1, v[0:1]
.LBB2_25:                               ; =>This Inner Loop Header: Depth=1
	s_delay_alu instid0(VALU_DEP_1) | instskip(SKIP_1) | instid1(VALU_DEP_2)
	v_add_co_u32 v4, vcc_lo, s6, v0
	s_wait_alu 0xfffd
	v_add_co_ci_u32_e64 v5, null, s7, v1, vcc_lo
	v_add_nc_u32_e32 v3, s15, v3
	global_load_u16 v4, v[4:5], off
	v_cmp_le_i32_e64 s0, s14, v3
	s_wait_alu 0xfffe
	s_or_b32 s8, s0, s8
	s_wait_loadcnt 0x0
	v_lshlrev_b32_e32 v4, 16, v4
	s_delay_alu instid0(VALU_DEP_1) | instskip(NEXT) | instid1(VALU_DEP_1)
	v_mul_f32_e32 v4, s2, v4
	v_mul_f32_e32 v6, v2, v4
	s_delay_alu instid0(VALU_DEP_1) | instskip(SKIP_1) | instid1(VALU_DEP_2)
	v_bfe_u32 v4, v6, 16, 1
	v_cmp_o_f32_e64 s1, v6, v6
	v_add3_u32 v7, v6, v4, 0x7fff
	v_add_co_u32 v4, vcc_lo, s4, v0
	s_wait_alu 0xfffd
	v_add_co_ci_u32_e64 v5, null, s5, v1, vcc_lo
	s_delay_alu instid0(VALU_DEP_3)
	v_lshrrev_b32_e32 v7, 16, v7
	v_add_co_u32 v0, vcc_lo, v0, s3
	s_wait_alu 0xfffd
	v_add_co_ci_u32_e64 v1, null, 0, v1, vcc_lo
	s_wait_alu 0xf1ff
	v_cndmask_b32_e64 v6, 0x7fc0, v7, s1
	global_store_b16 v[4:5], v6, off
	s_wait_alu 0xfffe
	s_and_not1_b32 exec_lo, exec_lo, s8
	s_cbranch_execnz .LBB2_25
.LBB2_26:
	s_endpgm
	.section	.rodata,"a",@progbits
	.p2align	6, 0x0
	.amdhsa_kernel _ZN2at6native12_GLOBAL__N_132weight_norm_fwd_first_dim_kernelIN3c108BFloat16EfEEvPT_PT0_PKS5_SA_i
		.amdhsa_group_segment_fixed_size 0
		.amdhsa_private_segment_fixed_size 0
		.amdhsa_kernarg_size 296
		.amdhsa_user_sgpr_count 2
		.amdhsa_user_sgpr_dispatch_ptr 0
		.amdhsa_user_sgpr_queue_ptr 0
		.amdhsa_user_sgpr_kernarg_segment_ptr 1
		.amdhsa_user_sgpr_dispatch_id 0
		.amdhsa_user_sgpr_private_segment_size 0
		.amdhsa_wavefront_size32 1
		.amdhsa_uses_dynamic_stack 0
		.amdhsa_enable_private_segment 0
		.amdhsa_system_sgpr_workgroup_id_x 1
		.amdhsa_system_sgpr_workgroup_id_y 0
		.amdhsa_system_sgpr_workgroup_id_z 0
		.amdhsa_system_sgpr_workgroup_info 0
		.amdhsa_system_vgpr_workitem_id 1
		.amdhsa_next_free_vgpr 12
		.amdhsa_next_free_sgpr 20
		.amdhsa_reserve_vcc 1
		.amdhsa_float_round_mode_32 0
		.amdhsa_float_round_mode_16_64 0
		.amdhsa_float_denorm_mode_32 3
		.amdhsa_float_denorm_mode_16_64 3
		.amdhsa_fp16_overflow 0
		.amdhsa_workgroup_processor_mode 1
		.amdhsa_memory_ordered 1
		.amdhsa_forward_progress 1
		.amdhsa_inst_pref_size 15
		.amdhsa_round_robin_scheduling 0
		.amdhsa_exception_fp_ieee_invalid_op 0
		.amdhsa_exception_fp_denorm_src 0
		.amdhsa_exception_fp_ieee_div_zero 0
		.amdhsa_exception_fp_ieee_overflow 0
		.amdhsa_exception_fp_ieee_underflow 0
		.amdhsa_exception_fp_ieee_inexact 0
		.amdhsa_exception_int_div_zero 0
	.end_amdhsa_kernel
	.section	.text._ZN2at6native12_GLOBAL__N_132weight_norm_fwd_first_dim_kernelIN3c108BFloat16EfEEvPT_PT0_PKS5_SA_i,"axG",@progbits,_ZN2at6native12_GLOBAL__N_132weight_norm_fwd_first_dim_kernelIN3c108BFloat16EfEEvPT_PT0_PKS5_SA_i,comdat
.Lfunc_end2:
	.size	_ZN2at6native12_GLOBAL__N_132weight_norm_fwd_first_dim_kernelIN3c108BFloat16EfEEvPT_PT0_PKS5_SA_i, .Lfunc_end2-_ZN2at6native12_GLOBAL__N_132weight_norm_fwd_first_dim_kernelIN3c108BFloat16EfEEvPT_PT0_PKS5_SA_i
                                        ; -- End function
	.set _ZN2at6native12_GLOBAL__N_132weight_norm_fwd_first_dim_kernelIN3c108BFloat16EfEEvPT_PT0_PKS5_SA_i.num_vgpr, 12
	.set _ZN2at6native12_GLOBAL__N_132weight_norm_fwd_first_dim_kernelIN3c108BFloat16EfEEvPT_PT0_PKS5_SA_i.num_agpr, 0
	.set _ZN2at6native12_GLOBAL__N_132weight_norm_fwd_first_dim_kernelIN3c108BFloat16EfEEvPT_PT0_PKS5_SA_i.numbered_sgpr, 20
	.set _ZN2at6native12_GLOBAL__N_132weight_norm_fwd_first_dim_kernelIN3c108BFloat16EfEEvPT_PT0_PKS5_SA_i.num_named_barrier, 0
	.set _ZN2at6native12_GLOBAL__N_132weight_norm_fwd_first_dim_kernelIN3c108BFloat16EfEEvPT_PT0_PKS5_SA_i.private_seg_size, 0
	.set _ZN2at6native12_GLOBAL__N_132weight_norm_fwd_first_dim_kernelIN3c108BFloat16EfEEvPT_PT0_PKS5_SA_i.uses_vcc, 1
	.set _ZN2at6native12_GLOBAL__N_132weight_norm_fwd_first_dim_kernelIN3c108BFloat16EfEEvPT_PT0_PKS5_SA_i.uses_flat_scratch, 0
	.set _ZN2at6native12_GLOBAL__N_132weight_norm_fwd_first_dim_kernelIN3c108BFloat16EfEEvPT_PT0_PKS5_SA_i.has_dyn_sized_stack, 0
	.set _ZN2at6native12_GLOBAL__N_132weight_norm_fwd_first_dim_kernelIN3c108BFloat16EfEEvPT_PT0_PKS5_SA_i.has_recursion, 0
	.set _ZN2at6native12_GLOBAL__N_132weight_norm_fwd_first_dim_kernelIN3c108BFloat16EfEEvPT_PT0_PKS5_SA_i.has_indirect_call, 0
	.section	.AMDGPU.csdata,"",@progbits
; Kernel info:
; codeLenInByte = 1808
; TotalNumSgprs: 22
; NumVgprs: 12
; ScratchSize: 0
; MemoryBound: 0
; FloatMode: 240
; IeeeMode: 1
; LDSByteSize: 0 bytes/workgroup (compile time only)
; SGPRBlocks: 0
; VGPRBlocks: 1
; NumSGPRsForWavesPerEU: 22
; NumVGPRsForWavesPerEU: 12
; Occupancy: 16
; WaveLimiterHint : 0
; COMPUTE_PGM_RSRC2:SCRATCH_EN: 0
; COMPUTE_PGM_RSRC2:USER_SGPR: 2
; COMPUTE_PGM_RSRC2:TRAP_HANDLER: 0
; COMPUTE_PGM_RSRC2:TGID_X_EN: 1
; COMPUTE_PGM_RSRC2:TGID_Y_EN: 0
; COMPUTE_PGM_RSRC2:TGID_Z_EN: 0
; COMPUTE_PGM_RSRC2:TIDIG_COMP_CNT: 1
	.section	.text._ZN2at6native12_GLOBAL__N_132weight_norm_fwd_first_dim_kernelIN3c104HalfEfEEvPT_PT0_PKS5_SA_i,"axG",@progbits,_ZN2at6native12_GLOBAL__N_132weight_norm_fwd_first_dim_kernelIN3c104HalfEfEEvPT_PT0_PKS5_SA_i,comdat
	.globl	_ZN2at6native12_GLOBAL__N_132weight_norm_fwd_first_dim_kernelIN3c104HalfEfEEvPT_PT0_PKS5_SA_i ; -- Begin function _ZN2at6native12_GLOBAL__N_132weight_norm_fwd_first_dim_kernelIN3c104HalfEfEEvPT_PT0_PKS5_SA_i
	.p2align	8
	.type	_ZN2at6native12_GLOBAL__N_132weight_norm_fwd_first_dim_kernelIN3c104HalfEfEEvPT_PT0_PKS5_SA_i,@function
_ZN2at6native12_GLOBAL__N_132weight_norm_fwd_first_dim_kernelIN3c104HalfEfEEvPT_PT0_PKS5_SA_i: ; @_ZN2at6native12_GLOBAL__N_132weight_norm_fwd_first_dim_kernelIN3c104HalfEfEEvPT_PT0_PKS5_SA_i
; %bb.0:
	s_clause 0x3
	s_load_b32 s14, s[0:1], 0x20
	s_load_b32 s3, s[0:1], 0x34
	s_load_b64 s[4:5], s[0:1], 0x0
	s_load_b64 s[6:7], s[0:1], 0x10
	v_dual_mov_b32 v4, 0 :: v_dual_and_b32 v3, 0x3ff, v0
	s_mov_b32 s8, ttmp9
	s_wait_kmcnt 0x0
	s_delay_alu instid0(VALU_DEP_1)
	v_cmp_gt_i32_e64 s2, s14, v3
	s_and_b32 s15, s3, 0xffff
	s_mul_i32 s16, s14, ttmp9
	s_and_saveexec_b32 s9, s2
	s_cbranch_execz .LBB3_4
; %bb.1:
	v_dual_mov_b32 v4, 0 :: v_dual_add_nc_u32 v1, s16, v3
	v_mov_b32_e32 v5, v3
	s_wait_alu 0xfffe
	s_lshl_b32 s11, s15, 1
	s_mov_b32 s10, 0
	v_ashrrev_i32_e32 v2, 31, v1
	s_delay_alu instid0(VALU_DEP_1) | instskip(NEXT) | instid1(VALU_DEP_1)
	v_lshlrev_b64_e32 v[1:2], 1, v[1:2]
	v_add_co_u32 v1, vcc_lo, s6, v1
	s_delay_alu instid0(VALU_DEP_1)
	v_add_co_ci_u32_e64 v2, null, s7, v2, vcc_lo
.LBB3_2:                                ; =>This Inner Loop Header: Depth=1
	global_load_u16 v6, v[1:2], off
	v_add_nc_u32_e32 v5, s15, v5
	v_add_co_u32 v1, vcc_lo, v1, s11
	s_wait_alu 0xfffd
	v_add_co_ci_u32_e64 v2, null, 0, v2, vcc_lo
	s_delay_alu instid0(VALU_DEP_3)
	v_cmp_le_i32_e64 s3, s14, v5
	s_or_b32 s10, s3, s10
	s_wait_loadcnt 0x0
	v_fma_mix_f32 v4, v6, v6, v4 op_sel_hi:[1,1,0]
	s_wait_alu 0xfffe
	s_and_not1_b32 exec_lo, exec_lo, s10
	s_cbranch_execnz .LBB3_2
; %bb.3:
	s_or_b32 exec_lo, exec_lo, s10
.LBB3_4:
	s_delay_alu instid0(SALU_CYCLE_1)
	s_or_b32 exec_lo, exec_lo, s9
	s_clause 0x1
	s_load_b64 s[12:13], s[0:1], 0x8
	s_load_b64 s[10:11], s[0:1], 0x18
	s_add_nc_u64 s[0:1], s[0:1], 40
	v_bfe_u32 v0, v0, 10, 10
	s_load_u16 s0, s[0:1], 0xe
	s_delay_alu instid0(VALU_DEP_1) | instskip(SKIP_2) | instid1(SALU_CYCLE_1)
	v_mad_u32_u24 v0, v0, s15, v3
	s_wait_kmcnt 0x0
	s_mul_i32 s0, s0, s15
	s_cmp_gt_i32 s0, 63
	s_cselect_b32 s1, -1, 0
	s_cmp_lt_i32 s0, 64
	s_cbranch_scc1 .LBB3_6
; %bb.5:
	v_lshl_add_u32 v1, v0, 2, 0
	ds_store_b32 v1, v4
	s_wait_dscnt 0x0
	s_barrier_signal -1
	s_barrier_wait -1
	global_inv scope:SCOPE_SE
.LBB3_6:
	s_ashr_i32 s0, s0, 1
	s_delay_alu instid0(SALU_CYCLE_1)
	s_cmp_lt_i32 s0, 64
	s_cbranch_scc1 .LBB3_11
; %bb.7:
	v_lshl_add_u32 v1, v0, 2, 0
	s_branch .LBB3_9
.LBB3_8:                                ;   in Loop: Header=BB3_9 Depth=1
	s_or_b32 exec_lo, exec_lo, s3
	s_lshr_b32 s3, s0, 1
	s_cmp_lt_u32 s0, 0x80
	s_mov_b32 s0, s3
	s_wait_loadcnt_dscnt 0x0
	s_barrier_signal -1
	s_barrier_wait -1
	global_inv scope:SCOPE_SE
	s_cbranch_scc1 .LBB3_11
.LBB3_9:                                ; =>This Inner Loop Header: Depth=1
	s_mov_b32 s3, exec_lo
	s_wait_alu 0xfffe
	v_cmpx_gt_i32_e64 s0, v0
	s_cbranch_execz .LBB3_8
; %bb.10:                               ;   in Loop: Header=BB3_9 Depth=1
	v_lshl_add_u32 v2, s0, 2, v1
	ds_load_b32 v5, v1
	ds_load_b32 v2, v2
	s_wait_dscnt 0x0
	v_add_f32_e32 v2, v5, v2
	ds_store_b32 v1, v2
	s_branch .LBB3_8
.LBB3_11:
	s_mov_b32 s0, exec_lo
	v_cmpx_gt_u32_e32 32, v0
	s_cbranch_execz .LBB3_16
; %bb.12:
	s_and_not1_b32 vcc_lo, exec_lo, s1
	s_wait_alu 0xfffe
	s_cbranch_vccnz .LBB3_14
; %bb.13:
	v_lshl_add_u32 v1, v0, 2, 0
	ds_load_2addr_b32 v[1:2], v1 offset1:32
	s_wait_dscnt 0x0
	v_add_f32_e32 v4, v1, v2
.LBB3_14:
	v_mbcnt_lo_u32_b32 v1, -1, 0
	s_delay_alu instid0(VALU_DEP_1)
	v_lshl_or_b32 v2, v1, 2, 64
	v_cmp_gt_u32_e32 vcc_lo, 24, v1
	ds_bpermute_b32 v2, v2, v4
	s_wait_alu 0xfffd
	v_cndmask_b32_e64 v5, 0, 8, vcc_lo
	v_cmp_gt_u32_e32 vcc_lo, 28, v1
	s_delay_alu instid0(VALU_DEP_2)
	v_add_lshl_u32 v5, v5, v1, 2
	s_wait_dscnt 0x0
	v_add_f32_e32 v2, v4, v2
	ds_bpermute_b32 v4, v5, v2
	s_wait_alu 0xfffd
	v_cndmask_b32_e64 v5, 0, 4, vcc_lo
	v_cmp_gt_u32_e32 vcc_lo, 30, v1
	s_delay_alu instid0(VALU_DEP_2)
	v_add_lshl_u32 v5, v5, v1, 2
	s_wait_dscnt 0x0
	v_add_f32_e32 v2, v2, v4
	ds_bpermute_b32 v4, v5, v2
	s_wait_alu 0xfffd
	v_cndmask_b32_e64 v5, 0, 2, vcc_lo
	v_cmp_ne_u32_e32 vcc_lo, 31, v1
	s_delay_alu instid0(VALU_DEP_2)
	v_add_lshl_u32 v5, v5, v1, 2
	s_wait_dscnt 0x0
	v_add_f32_e32 v2, v2, v4
	ds_bpermute_b32 v4, v5, v2
	s_wait_alu 0xfffd
	v_add_co_ci_u32_e64 v5, null, 0, v1, vcc_lo
	v_cmp_eq_u32_e32 vcc_lo, 0, v0
	s_wait_dscnt 0x0
	s_delay_alu instid0(VALU_DEP_2)
	v_dual_add_f32 v1, v2, v4 :: v_dual_lshlrev_b32 v2, 2, v5
	ds_bpermute_b32 v2, v2, v1
	s_and_b32 exec_lo, exec_lo, vcc_lo
	s_cbranch_execz .LBB3_16
; %bb.15:
	s_wait_dscnt 0x0
	v_dual_add_f32 v0, v1, v2 :: v_dual_mov_b32 v1, 0
	ds_store_b32 v1, v0
.LBB3_16:
	s_wait_alu 0xfffe
	s_or_b32 exec_lo, exec_lo, s0
	v_mov_b32_e32 v1, 0
	s_wait_loadcnt_dscnt 0x0
	s_barrier_signal -1
	s_barrier_wait -1
	global_inv scope:SCOPE_SE
	ds_load_b32 v0, v1
	s_wait_dscnt 0x0
	v_readfirstlane_b32 s0, v0
	v_cmp_gt_f32_e32 vcc_lo, 0xf800000, v0
	s_mul_f32 s1, s0, 0x4f800000
	s_cmp_lt_f32 s0, 0xf800000
	s_wait_alu 0xfffe
	s_delay_alu instid0(SALU_CYCLE_1) | instskip(SKIP_3) | instid1(TRANS32_DEP_1)
	s_cselect_b32 s0, s1, s0
	s_wait_alu 0xfffe
	v_s_sqrt_f32 s1, s0
	s_mov_b32 s9, s0
	s_add_co_i32 s3, s1, -1
	s_delay_alu instid0(SALU_CYCLE_1) | instskip(SKIP_3) | instid1(SALU_CYCLE_2)
	s_xor_b32 s17, s3, 0x80000000
	s_wait_alu 0xfffe
	s_fmac_f32 s9, s17, s1
	s_mov_b32 s17, s0
	s_cmp_le_f32 s9, 0
	s_cselect_b32 s3, s3, s1
	s_add_co_i32 s9, s1, 1
	s_delay_alu instid0(SALU_CYCLE_1) | instskip(SKIP_3) | instid1(SALU_CYCLE_2)
	s_xor_b32 s18, s9, 0x80000000
	s_wait_alu 0xfffe
	s_fmac_f32 s17, s18, s1
	s_wait_alu 0xfffe
	s_cmp_gt_f32 s17, 0
	s_cselect_b32 s1, s9, s3
	s_ashr_i32 s9, s8, 31
	s_wait_alu 0xfffe
	s_mul_f32 s3, s1, 0x37800000
	s_delay_alu instid0(SALU_CYCLE_3) | instskip(SKIP_1) | instid1(VALU_DEP_1)
	v_mov_b32_e32 v2, s3
	s_wait_alu 0xfffd
	v_cndmask_b32_e32 v0, s1, v2, vcc_lo
	v_cmp_class_f32_e64 s1, s0, 0x260
	s_wait_alu 0xf1ff
	s_delay_alu instid0(VALU_DEP_1)
	v_cndmask_b32_e64 v0, v0, s0, s1
	s_mov_b32 s0, exec_lo
	v_cmpx_eq_u32_e32 0, v3
	s_cbranch_execz .LBB3_18
; %bb.17:
	s_lshl_b64 s[18:19], s[8:9], 2
	s_delay_alu instid0(SALU_CYCLE_1)
	s_add_nc_u64 s[12:13], s[12:13], s[18:19]
	global_store_b32 v1, v0, s[12:13]
.LBB3_18:
	s_wait_alu 0xfffe
	s_or_b32 exec_lo, exec_lo, s0
	s_and_saveexec_b32 s0, s2
	s_cbranch_execz .LBB3_26
; %bb.19:
	v_div_scale_f32 v2, null, v0, v0, 1.0
	s_lshl_b64 s[0:1], s[8:9], 1
	v_div_scale_f32 v6, vcc_lo, 1.0, v0, 1.0
	v_rcp_f32_e32 v4, v2
	v_xor_b32_e32 v2, 0x80000000, v2
	s_wait_alu 0xfffe
	s_add_nc_u64 s[0:1], s[10:11], s[0:1]
	v_add_nc_u32_e32 v8, 1, v3
	s_delay_alu instid0(TRANS32_DEP_1) | instid1(VALU_DEP_2)
	v_fma_f32 v5, v2, v4, 1.0
	s_delay_alu instid0(VALU_DEP_1)
	v_dual_mov_b32 v1, 0 :: v_dual_fmac_f32 v4, v5, v4
	global_load_u16 v1, v1, s[0:1]
	s_and_b32 s0, s15, 0xffff
	s_wait_alu 0xfffe
	s_cmp_eq_u32 s0, 1
	v_mul_f32_e32 v7, v6, v4
	s_cselect_b32 s0, -1, 0
	s_delay_alu instid0(VALU_DEP_1) | instskip(NEXT) | instid1(VALU_DEP_1)
	v_fma_f32 v5, v2, v7, v6
	v_fmac_f32_e32 v7, v5, v4
	v_max_i32_e32 v5, s14, v8
	s_delay_alu instid0(VALU_DEP_2) | instskip(NEXT) | instid1(VALU_DEP_2)
	v_fmac_f32_e32 v6, v2, v7
	v_sub_nc_u32_e32 v5, v5, v3
	s_wait_alu 0xfffd
	s_delay_alu instid0(VALU_DEP_2) | instskip(NEXT) | instid1(VALU_DEP_2)
	v_div_fmas_f32 v2, v6, v4, v7
	v_cmp_lt_u32_e32 vcc_lo, 1, v5
	s_delay_alu instid0(VALU_DEP_2)
	v_div_fixup_f32 v2, v2, v0, 1.0
	s_wait_alu 0xfffe
	s_and_b32 s2, vcc_lo, s0
	s_mov_b32 s0, -1
	s_wait_loadcnt 0x0
	v_cvt_f32_f16_e32 v4, v1
	s_wait_alu 0xfffe
	s_and_saveexec_b32 s1, s2
	s_cbranch_execz .LBB3_23
; %bb.20:
	v_and_b32_e32 v6, -2, v5
	v_add_nc_u32_e32 v0, s16, v3
	s_mov_b32 s2, 0
	s_delay_alu instid0(VALU_DEP_2)
	v_mov_b32_e32 v7, v6
.LBB3_21:                               ; =>This Inner Loop Header: Depth=1
	s_delay_alu instid0(VALU_DEP_2) | instskip(NEXT) | instid1(VALU_DEP_1)
	v_ashrrev_i32_e32 v1, 31, v0
	v_lshlrev_b64_e32 v[8:9], 1, v[0:1]
	v_add_nc_u32_e32 v0, 2, v0
	s_delay_alu instid0(VALU_DEP_2) | instskip(SKIP_1) | instid1(VALU_DEP_3)
	v_add_co_u32 v10, vcc_lo, s6, v8
	s_wait_alu 0xfffd
	v_add_co_ci_u32_e64 v11, null, s7, v9, vcc_lo
	v_add_co_u32 v8, s0, s4, v8
	s_wait_alu 0xf1ff
	v_add_co_ci_u32_e64 v9, null, s5, v9, s0
	global_load_b32 v1, v[10:11], off
	s_wait_loadcnt 0x0
	v_lshrrev_b32_e32 v10, 16, v1
	v_cvt_f32_f16_e32 v1, v1
	s_delay_alu instid0(VALU_DEP_2) | instskip(NEXT) | instid1(VALU_DEP_2)
	v_cvt_f32_f16_e32 v10, v10
	v_mul_f32_e32 v1, v4, v1
	s_delay_alu instid0(VALU_DEP_2) | instskip(NEXT) | instid1(VALU_DEP_2)
	v_dual_mul_f32 v10, v4, v10 :: v_dual_add_nc_u32 v7, -2, v7
	v_fma_mixlo_f16 v1, v2, v1, 0
	s_delay_alu instid0(VALU_DEP_2) | instskip(NEXT) | instid1(VALU_DEP_2)
	v_cmp_eq_u32_e32 vcc_lo, 0, v7
	v_fma_mixhi_f16 v1, v2, v10, 0
	s_wait_alu 0xfffe
	s_or_b32 s2, vcc_lo, s2
	global_store_b32 v[8:9], v1, off
	s_wait_alu 0xfffe
	s_and_not1_b32 exec_lo, exec_lo, s2
	s_cbranch_execnz .LBB3_21
; %bb.22:
	s_or_b32 exec_lo, exec_lo, s2
	v_cmp_ne_u32_e32 vcc_lo, v5, v6
	v_add_nc_u32_e32 v3, v3, v6
	s_or_not1_b32 s0, vcc_lo, exec_lo
.LBB3_23:
	s_wait_alu 0xfffe
	s_or_b32 exec_lo, exec_lo, s1
	s_delay_alu instid0(SALU_CYCLE_1)
	s_and_b32 exec_lo, exec_lo, s0
	s_cbranch_execz .LBB3_26
; %bb.24:
	v_ashrrev_i32_e32 v1, 31, v3
	s_ashr_i32 s0, s16, 31
	v_add_co_u32 v0, vcc_lo, v3, s16
	s_lshl_b32 s1, s15, 1
	s_wait_alu 0xfffc
	v_add_co_ci_u32_e64 v1, null, s0, v1, vcc_lo
	s_mov_b32 s2, 0
	v_lshlrev_b64_e32 v[0:1], 1, v[0:1]
.LBB3_25:                               ; =>This Inner Loop Header: Depth=1
	s_delay_alu instid0(VALU_DEP_1) | instskip(SKIP_1) | instid1(VALU_DEP_2)
	v_add_co_u32 v5, vcc_lo, s6, v0
	s_wait_alu 0xfffd
	v_add_co_ci_u32_e64 v6, null, s7, v1, vcc_lo
	v_add_nc_u32_e32 v3, s15, v3
	global_load_u16 v6, v[5:6], off
	v_add_co_u32 v5, vcc_lo, s4, v0
	v_cmp_le_i32_e64 s0, s14, v3
	s_wait_alu 0xfffe
	s_or_b32 s2, s0, s2
	s_wait_loadcnt 0x0
	v_cvt_f32_f16_e32 v7, v6
	s_wait_alu 0xfffd
	v_add_co_ci_u32_e64 v6, null, s5, v1, vcc_lo
	v_add_co_u32 v0, vcc_lo, v0, s1
	s_delay_alu instid0(VALU_DEP_3) | instskip(SKIP_2) | instid1(VALU_DEP_2)
	v_mul_f32_e32 v7, v4, v7
	s_wait_alu 0xfffd
	v_add_co_ci_u32_e64 v1, null, 0, v1, vcc_lo
	v_fma_mixlo_f16 v7, v2, v7, 0
	global_store_b16 v[5:6], v7, off
	s_wait_alu 0xfffe
	s_and_not1_b32 exec_lo, exec_lo, s2
	s_cbranch_execnz .LBB3_25
.LBB3_26:
	s_endpgm
	.section	.rodata,"a",@progbits
	.p2align	6, 0x0
	.amdhsa_kernel _ZN2at6native12_GLOBAL__N_132weight_norm_fwd_first_dim_kernelIN3c104HalfEfEEvPT_PT0_PKS5_SA_i
		.amdhsa_group_segment_fixed_size 0
		.amdhsa_private_segment_fixed_size 0
		.amdhsa_kernarg_size 296
		.amdhsa_user_sgpr_count 2
		.amdhsa_user_sgpr_dispatch_ptr 0
		.amdhsa_user_sgpr_queue_ptr 0
		.amdhsa_user_sgpr_kernarg_segment_ptr 1
		.amdhsa_user_sgpr_dispatch_id 0
		.amdhsa_user_sgpr_private_segment_size 0
		.amdhsa_wavefront_size32 1
		.amdhsa_uses_dynamic_stack 0
		.amdhsa_enable_private_segment 0
		.amdhsa_system_sgpr_workgroup_id_x 1
		.amdhsa_system_sgpr_workgroup_id_y 0
		.amdhsa_system_sgpr_workgroup_id_z 0
		.amdhsa_system_sgpr_workgroup_info 0
		.amdhsa_system_vgpr_workitem_id 1
		.amdhsa_next_free_vgpr 12
		.amdhsa_next_free_sgpr 20
		.amdhsa_reserve_vcc 1
		.amdhsa_float_round_mode_32 0
		.amdhsa_float_round_mode_16_64 0
		.amdhsa_float_denorm_mode_32 3
		.amdhsa_float_denorm_mode_16_64 3
		.amdhsa_fp16_overflow 0
		.amdhsa_workgroup_processor_mode 1
		.amdhsa_memory_ordered 1
		.amdhsa_forward_progress 1
		.amdhsa_inst_pref_size 13
		.amdhsa_round_robin_scheduling 0
		.amdhsa_exception_fp_ieee_invalid_op 0
		.amdhsa_exception_fp_denorm_src 0
		.amdhsa_exception_fp_ieee_div_zero 0
		.amdhsa_exception_fp_ieee_overflow 0
		.amdhsa_exception_fp_ieee_underflow 0
		.amdhsa_exception_fp_ieee_inexact 0
		.amdhsa_exception_int_div_zero 0
	.end_amdhsa_kernel
	.section	.text._ZN2at6native12_GLOBAL__N_132weight_norm_fwd_first_dim_kernelIN3c104HalfEfEEvPT_PT0_PKS5_SA_i,"axG",@progbits,_ZN2at6native12_GLOBAL__N_132weight_norm_fwd_first_dim_kernelIN3c104HalfEfEEvPT_PT0_PKS5_SA_i,comdat
.Lfunc_end3:
	.size	_ZN2at6native12_GLOBAL__N_132weight_norm_fwd_first_dim_kernelIN3c104HalfEfEEvPT_PT0_PKS5_SA_i, .Lfunc_end3-_ZN2at6native12_GLOBAL__N_132weight_norm_fwd_first_dim_kernelIN3c104HalfEfEEvPT_PT0_PKS5_SA_i
                                        ; -- End function
	.set _ZN2at6native12_GLOBAL__N_132weight_norm_fwd_first_dim_kernelIN3c104HalfEfEEvPT_PT0_PKS5_SA_i.num_vgpr, 12
	.set _ZN2at6native12_GLOBAL__N_132weight_norm_fwd_first_dim_kernelIN3c104HalfEfEEvPT_PT0_PKS5_SA_i.num_agpr, 0
	.set _ZN2at6native12_GLOBAL__N_132weight_norm_fwd_first_dim_kernelIN3c104HalfEfEEvPT_PT0_PKS5_SA_i.numbered_sgpr, 20
	.set _ZN2at6native12_GLOBAL__N_132weight_norm_fwd_first_dim_kernelIN3c104HalfEfEEvPT_PT0_PKS5_SA_i.num_named_barrier, 0
	.set _ZN2at6native12_GLOBAL__N_132weight_norm_fwd_first_dim_kernelIN3c104HalfEfEEvPT_PT0_PKS5_SA_i.private_seg_size, 0
	.set _ZN2at6native12_GLOBAL__N_132weight_norm_fwd_first_dim_kernelIN3c104HalfEfEEvPT_PT0_PKS5_SA_i.uses_vcc, 1
	.set _ZN2at6native12_GLOBAL__N_132weight_norm_fwd_first_dim_kernelIN3c104HalfEfEEvPT_PT0_PKS5_SA_i.uses_flat_scratch, 0
	.set _ZN2at6native12_GLOBAL__N_132weight_norm_fwd_first_dim_kernelIN3c104HalfEfEEvPT_PT0_PKS5_SA_i.has_dyn_sized_stack, 0
	.set _ZN2at6native12_GLOBAL__N_132weight_norm_fwd_first_dim_kernelIN3c104HalfEfEEvPT_PT0_PKS5_SA_i.has_recursion, 0
	.set _ZN2at6native12_GLOBAL__N_132weight_norm_fwd_first_dim_kernelIN3c104HalfEfEEvPT_PT0_PKS5_SA_i.has_indirect_call, 0
	.section	.AMDGPU.csdata,"",@progbits
; Kernel info:
; codeLenInByte = 1664
; TotalNumSgprs: 22
; NumVgprs: 12
; ScratchSize: 0
; MemoryBound: 0
; FloatMode: 240
; IeeeMode: 1
; LDSByteSize: 0 bytes/workgroup (compile time only)
; SGPRBlocks: 0
; VGPRBlocks: 1
; NumSGPRsForWavesPerEU: 22
; NumVGPRsForWavesPerEU: 12
; Occupancy: 16
; WaveLimiterHint : 0
; COMPUTE_PGM_RSRC2:SCRATCH_EN: 0
; COMPUTE_PGM_RSRC2:USER_SGPR: 2
; COMPUTE_PGM_RSRC2:TRAP_HANDLER: 0
; COMPUTE_PGM_RSRC2:TGID_X_EN: 1
; COMPUTE_PGM_RSRC2:TGID_Y_EN: 0
; COMPUTE_PGM_RSRC2:TGID_Z_EN: 0
; COMPUTE_PGM_RSRC2:TIDIG_COMP_CNT: 1
	.section	.text._ZN2at6native12_GLOBAL__N_131weight_norm_fwd_last_dim_kernelIddEEvPT_PT0_PKS3_S8_ii,"axG",@progbits,_ZN2at6native12_GLOBAL__N_131weight_norm_fwd_last_dim_kernelIddEEvPT_PT0_PKS3_S8_ii,comdat
	.globl	_ZN2at6native12_GLOBAL__N_131weight_norm_fwd_last_dim_kernelIddEEvPT_PT0_PKS3_S8_ii ; -- Begin function _ZN2at6native12_GLOBAL__N_131weight_norm_fwd_last_dim_kernelIddEEvPT_PT0_PKS3_S8_ii
	.p2align	8
	.type	_ZN2at6native12_GLOBAL__N_131weight_norm_fwd_last_dim_kernelIddEEvPT_PT0_PKS3_S8_ii,@function
_ZN2at6native12_GLOBAL__N_131weight_norm_fwd_last_dim_kernelIddEEvPT_PT0_PKS3_S8_ii: ; @_ZN2at6native12_GLOBAL__N_131weight_norm_fwd_last_dim_kernelIddEEvPT_PT0_PKS3_S8_ii
; %bb.0:
	s_clause 0x1
	s_load_b32 s12, s[0:1], 0x34
	s_load_b64 s[2:3], s[0:1], 0x20
	v_and_b32_e32 v2, 0x3ff, v0
	s_load_b256 s[4:11], s[0:1], 0x0
	v_bfe_u32 v8, v0, 10, 10
	s_wait_kmcnt 0x0
	s_and_b32 s13, s12, 0xffff
	s_delay_alu instid0(VALU_DEP_1)
	v_cmp_gt_i32_e64 s0, s3, v8
	v_mad_co_u64_u32 v[3:4], null, ttmp9, s13, v[2:3]
	s_lshr_b32 s1, s12, 16
	v_mad_co_u64_u32 v[0:1], null, s2, v8, v[3:4]
	v_cmp_gt_i32_e32 vcc_lo, s2, v3
	v_mov_b32_e32 v4, 0
	v_mov_b32_e32 v5, 0
	s_wait_alu 0xfffe
	s_mul_i32 s2, s2, s1
	s_and_b32 s12, vcc_lo, s0
	s_wait_alu 0xfffe
	s_and_saveexec_b32 s0, s12
	s_cbranch_execz .LBB4_4
; %bb.1:
	v_dual_mov_b32 v4, 0 :: v_dual_mov_b32 v1, v8
	v_dual_mov_b32 v5, 0 :: v_dual_mov_b32 v6, v0
	s_mov_b32 s14, 0
.LBB4_2:                                ; =>This Inner Loop Header: Depth=1
	s_delay_alu instid0(VALU_DEP_1) | instskip(NEXT) | instid1(VALU_DEP_3)
	v_ashrrev_i32_e32 v7, 31, v6
	v_add_nc_u32_e32 v1, s1, v1
	s_delay_alu instid0(VALU_DEP_2) | instskip(SKIP_1) | instid1(VALU_DEP_2)
	v_lshlrev_b64_e32 v[9:10], 3, v[6:7]
	v_add_nc_u32_e32 v6, s2, v6
	v_add_co_u32 v9, vcc_lo, s8, v9
	s_wait_alu 0xfffd
	s_delay_alu instid0(VALU_DEP_3)
	v_add_co_ci_u32_e64 v10, null, s9, v10, vcc_lo
	v_cmp_le_i32_e32 vcc_lo, s3, v1
	global_load_b64 v[9:10], v[9:10], off
	s_or_b32 s14, vcc_lo, s14
	s_wait_loadcnt 0x0
	v_fma_f64 v[4:5], v[9:10], v[9:10], v[4:5]
	s_and_not1_b32 exec_lo, exec_lo, s14
	s_cbranch_execnz .LBB4_2
; %bb.3:
	s_or_b32 exec_lo, exec_lo, s14
.LBB4_4:
	s_wait_alu 0xfffe
	s_or_b32 exec_lo, exec_lo, s0
	v_mad_u32_u24 v6, v8, s13, v2
	s_mul_i32 s0, s1, s13
	s_wait_alu 0xfffe
	s_cmp_gt_i32 s0, 63
	s_cselect_b32 s15, -1, 0
	v_lshl_add_u32 v1, v6, 3, 0
	s_cmp_lt_i32 s0, 64
	s_cbranch_scc1 .LBB4_6
; %bb.5:
	ds_store_b64 v1, v[4:5]
	s_wait_dscnt 0x0
	s_barrier_signal -1
	s_barrier_wait -1
	global_inv scope:SCOPE_SE
.LBB4_6:
	s_ashr_i32 s14, s0, 1
	s_delay_alu instid0(SALU_CYCLE_1)
	s_cmp_lt_i32 s14, 64
	s_cbranch_scc0 .LBB4_22
.LBB4_7:
	s_mov_b32 s14, exec_lo
	v_cmpx_gt_u32_e32 32, v6
	s_cbranch_execz .LBB4_15
; %bb.8:
	s_and_not1_b32 vcc_lo, exec_lo, s15
	s_wait_alu 0xfffe
	s_cbranch_vccnz .LBB4_10
; %bb.9:
	ds_load_2addr_b64 v[9:12], v1 offset1:32
	s_wait_dscnt 0x0
	v_add_f64_e32 v[4:5], v[9:10], v[11:12]
.LBB4_10:
	s_cmp_gt_u32 s13, 16
	s_mov_b32 s15, 16
	s_cbranch_scc1 .LBB4_13
; %bb.11:
	v_mbcnt_lo_u32_b32 v7, -1, 0
	s_delay_alu instid0(VALU_DEP_1)
	v_sub_nc_u32_e32 v9, 32, v7
.LBB4_12:                               ; =>This Inner Loop Header: Depth=1
	s_wait_alu 0xfffe
	s_delay_alu instid0(VALU_DEP_1)
	v_cmp_lt_u32_e32 vcc_lo, s15, v9
	s_wait_alu 0xfffd
	v_cndmask_b32_e64 v10, 0, s15, vcc_lo
	s_lshr_b32 s15, s15, 1
	s_wait_alu 0xfffe
	s_cmp_lt_u32 s15, s13
	s_delay_alu instid0(VALU_DEP_1)
	v_add_lshl_u32 v11, v10, v7, 2
	ds_bpermute_b32 v10, v11, v4
	ds_bpermute_b32 v11, v11, v5
	s_wait_dscnt 0x0
	v_add_f64_e32 v[4:5], v[4:5], v[10:11]
	s_cbranch_scc0 .LBB4_12
.LBB4_13:
	v_cmp_gt_u32_e32 vcc_lo, s13, v6
	s_and_b32 exec_lo, exec_lo, vcc_lo
; %bb.14:
	ds_store_b64 v1, v[4:5]
.LBB4_15:
	s_wait_alu 0xfffe
	s_or_b32 exec_lo, exec_lo, s14
	v_ashrrev_i32_e32 v4, 31, v3
	s_mov_b32 s13, exec_lo
	s_lshl_b32 s0, s0, 3
	s_wait_loadcnt_dscnt 0x0
	s_barrier_signal -1
	s_barrier_wait -1
	global_inv scope:SCOPE_SE
	v_cmpx_ne_u32_e32 0, v8
	s_wait_alu 0xfffe
	s_xor_b32 s13, exec_lo, s13
	s_wait_alu 0xfffe
	s_or_saveexec_b32 s14, s13
	s_add_co_i32 s13, s0, 0
	s_wait_alu 0xfffe
	s_xor_b32 exec_lo, exec_lo, s14
	s_cbranch_execz .LBB4_17
; %bb.16:
	v_lshlrev_b32_e32 v1, 3, v2
	s_delay_alu instid0(VALU_DEP_1) | instskip(SKIP_3) | instid1(VALU_DEP_1)
	v_add_nc_u32_e32 v5, 0, v1
	ds_load_b64 v[5:6], v5
	s_wait_dscnt 0x0
	v_cvt_f32_f64_e32 v5, v[5:6]
	v_mul_f32_e32 v6, 0x4f800000, v5
	v_cmp_gt_f32_e32 vcc_lo, 0xf800000, v5
	v_add_nc_u32_e32 v1, s13, v1
	s_wait_alu 0xfffd
	s_delay_alu instid0(VALU_DEP_3) | instskip(NEXT) | instid1(VALU_DEP_1)
	v_cndmask_b32_e32 v5, v5, v6, vcc_lo
	v_sqrt_f32_e32 v6, v5
	s_delay_alu instid0(TRANS32_DEP_1) | instskip(SKIP_1) | instid1(VALU_DEP_2)
	v_add_nc_u32_e32 v7, -1, v6
	v_add_nc_u32_e32 v9, 1, v6
	v_fma_f32 v10, -v7, v6, v5
	s_delay_alu instid0(VALU_DEP_2) | instskip(NEXT) | instid1(VALU_DEP_2)
	v_fma_f32 v11, -v9, v6, v5
	v_cmp_ge_f32_e64 s0, 0, v10
	s_wait_alu 0xf1ff
	s_delay_alu instid0(VALU_DEP_1) | instskip(NEXT) | instid1(VALU_DEP_3)
	v_cndmask_b32_e64 v6, v6, v7, s0
	v_cmp_lt_f32_e64 s0, 0, v11
	s_wait_alu 0xf1ff
	s_delay_alu instid0(VALU_DEP_1) | instskip(NEXT) | instid1(VALU_DEP_1)
	v_cndmask_b32_e64 v6, v6, v9, s0
	v_mul_f32_e32 v7, 0x37800000, v6
	s_delay_alu instid0(VALU_DEP_1) | instskip(SKIP_2) | instid1(VALU_DEP_2)
	v_cndmask_b32_e32 v6, v6, v7, vcc_lo
	v_cmp_class_f32_e64 vcc_lo, v5, 0x260
	s_wait_alu 0xfffd
	v_cndmask_b32_e32 v5, v6, v5, vcc_lo
	s_delay_alu instid0(VALU_DEP_1) | instskip(NEXT) | instid1(VALU_DEP_1)
	v_cvt_f64_f32_e32 v[5:6], v5
	v_div_scale_f64 v[9:10], null, v[5:6], v[5:6], 1.0
	s_delay_alu instid0(VALU_DEP_1) | instskip(NEXT) | instid1(TRANS32_DEP_1)
	v_rcp_f64_e32 v[11:12], v[9:10]
	v_fma_f64 v[13:14], -v[9:10], v[11:12], 1.0
	s_delay_alu instid0(VALU_DEP_1) | instskip(NEXT) | instid1(VALU_DEP_1)
	v_fma_f64 v[11:12], v[11:12], v[13:14], v[11:12]
	v_fma_f64 v[13:14], -v[9:10], v[11:12], 1.0
	s_delay_alu instid0(VALU_DEP_1) | instskip(SKIP_1) | instid1(VALU_DEP_1)
	v_fma_f64 v[11:12], v[11:12], v[13:14], v[11:12]
	v_div_scale_f64 v[13:14], vcc_lo, 1.0, v[5:6], 1.0
	v_mul_f64_e32 v[15:16], v[13:14], v[11:12]
	s_delay_alu instid0(VALU_DEP_1) | instskip(SKIP_1) | instid1(VALU_DEP_1)
	v_fma_f64 v[9:10], -v[9:10], v[15:16], v[13:14]
	s_wait_alu 0xfffd
	v_div_fmas_f64 v[9:10], v[9:10], v[11:12], v[15:16]
	v_lshlrev_b64_e32 v[11:12], 3, v[3:4]
	s_delay_alu instid0(VALU_DEP_1) | instskip(SKIP_1) | instid1(VALU_DEP_2)
	v_add_co_u32 v11, vcc_lo, s6, v11
	s_wait_alu 0xfffd
	v_add_co_ci_u32_e64 v12, null, s7, v12, vcc_lo
	global_store_b64 v[11:12], v[5:6], off
	v_div_fixup_f64 v[9:10], v[9:10], v[5:6], 1.0
	ds_store_b64 v1, v[9:10]
.LBB4_17:
	s_or_b32 exec_lo, exec_lo, s14
	s_wait_storecnt 0x0
	s_wait_loadcnt_dscnt 0x0
	s_barrier_signal -1
	s_barrier_wait -1
	global_inv scope:SCOPE_SE
	s_and_saveexec_b32 s0, s12
	s_cbranch_execz .LBB4_20
; %bb.18:
	v_lshlrev_b64_e32 v[3:4], 3, v[3:4]
	v_lshl_add_u32 v1, v2, 3, s13
	s_mov_b32 s6, 0
	ds_load_b64 v[5:6], v1
	v_add_co_u32 v3, vcc_lo, s10, v3
	s_wait_alu 0xfffd
	v_add_co_ci_u32_e64 v4, null, s11, v4, vcc_lo
	global_load_b64 v[3:4], v[3:4], off
.LBB4_19:                               ; =>This Inner Loop Header: Depth=1
	v_ashrrev_i32_e32 v1, 31, v0
	v_add_nc_u32_e32 v8, s1, v8
	s_delay_alu instid0(VALU_DEP_2) | instskip(SKIP_1) | instid1(VALU_DEP_2)
	v_lshlrev_b64_e32 v[1:2], 3, v[0:1]
	v_add_nc_u32_e32 v0, s2, v0
	v_add_co_u32 v9, vcc_lo, s8, v1
	s_wait_alu 0xfffd
	s_delay_alu instid0(VALU_DEP_3)
	v_add_co_ci_u32_e64 v10, null, s9, v2, vcc_lo
	v_cmp_le_i32_e32 vcc_lo, s3, v8
	v_add_co_u32 v1, s0, s4, v1
	global_load_b64 v[9:10], v[9:10], off
	s_wait_alu 0xf1fe
	v_add_co_ci_u32_e64 v2, null, s5, v2, s0
	s_or_b32 s6, vcc_lo, s6
	s_wait_loadcnt 0x0
	v_mul_f64_e32 v[9:10], v[3:4], v[9:10]
	s_wait_dscnt 0x0
	s_delay_alu instid0(VALU_DEP_1)
	v_mul_f64_e32 v[9:10], v[5:6], v[9:10]
	global_store_b64 v[1:2], v[9:10], off
	s_wait_alu 0xfffe
	s_and_not1_b32 exec_lo, exec_lo, s6
	s_cbranch_execnz .LBB4_19
.LBB4_20:
	s_endpgm
.LBB4_21:                               ;   in Loop: Header=BB4_22 Depth=1
	s_or_b32 exec_lo, exec_lo, s16
	s_lshr_b32 s16, s14, 1
	s_cmp_lt_u32 s14, 0x80
	s_mov_b32 s14, s16
	s_wait_loadcnt_dscnt 0x0
	s_barrier_signal -1
	s_barrier_wait -1
	global_inv scope:SCOPE_SE
	s_cbranch_scc1 .LBB4_7
.LBB4_22:                               ; =>This Inner Loop Header: Depth=1
	s_mov_b32 s16, exec_lo
	s_wait_alu 0xfffe
	v_cmpx_gt_i32_e64 s14, v6
	s_cbranch_execz .LBB4_21
; %bb.23:                               ;   in Loop: Header=BB4_22 Depth=1
	v_lshl_add_u32 v7, s14, 3, v1
	ds_load_b64 v[9:10], v1
	ds_load_b64 v[11:12], v7
	s_wait_dscnt 0x0
	v_add_f64_e32 v[9:10], v[9:10], v[11:12]
	ds_store_b64 v1, v[9:10]
	s_branch .LBB4_21
	.section	.rodata,"a",@progbits
	.p2align	6, 0x0
	.amdhsa_kernel _ZN2at6native12_GLOBAL__N_131weight_norm_fwd_last_dim_kernelIddEEvPT_PT0_PKS3_S8_ii
		.amdhsa_group_segment_fixed_size 0
		.amdhsa_private_segment_fixed_size 0
		.amdhsa_kernarg_size 296
		.amdhsa_user_sgpr_count 2
		.amdhsa_user_sgpr_dispatch_ptr 0
		.amdhsa_user_sgpr_queue_ptr 0
		.amdhsa_user_sgpr_kernarg_segment_ptr 1
		.amdhsa_user_sgpr_dispatch_id 0
		.amdhsa_user_sgpr_private_segment_size 0
		.amdhsa_wavefront_size32 1
		.amdhsa_uses_dynamic_stack 0
		.amdhsa_enable_private_segment 0
		.amdhsa_system_sgpr_workgroup_id_x 1
		.amdhsa_system_sgpr_workgroup_id_y 0
		.amdhsa_system_sgpr_workgroup_id_z 0
		.amdhsa_system_sgpr_workgroup_info 0
		.amdhsa_system_vgpr_workitem_id 1
		.amdhsa_next_free_vgpr 17
		.amdhsa_next_free_sgpr 17
		.amdhsa_reserve_vcc 1
		.amdhsa_float_round_mode_32 0
		.amdhsa_float_round_mode_16_64 0
		.amdhsa_float_denorm_mode_32 3
		.amdhsa_float_denorm_mode_16_64 3
		.amdhsa_fp16_overflow 0
		.amdhsa_workgroup_processor_mode 1
		.amdhsa_memory_ordered 1
		.amdhsa_forward_progress 1
		.amdhsa_inst_pref_size 10
		.amdhsa_round_robin_scheduling 0
		.amdhsa_exception_fp_ieee_invalid_op 0
		.amdhsa_exception_fp_denorm_src 0
		.amdhsa_exception_fp_ieee_div_zero 0
		.amdhsa_exception_fp_ieee_overflow 0
		.amdhsa_exception_fp_ieee_underflow 0
		.amdhsa_exception_fp_ieee_inexact 0
		.amdhsa_exception_int_div_zero 0
	.end_amdhsa_kernel
	.section	.text._ZN2at6native12_GLOBAL__N_131weight_norm_fwd_last_dim_kernelIddEEvPT_PT0_PKS3_S8_ii,"axG",@progbits,_ZN2at6native12_GLOBAL__N_131weight_norm_fwd_last_dim_kernelIddEEvPT_PT0_PKS3_S8_ii,comdat
.Lfunc_end4:
	.size	_ZN2at6native12_GLOBAL__N_131weight_norm_fwd_last_dim_kernelIddEEvPT_PT0_PKS3_S8_ii, .Lfunc_end4-_ZN2at6native12_GLOBAL__N_131weight_norm_fwd_last_dim_kernelIddEEvPT_PT0_PKS3_S8_ii
                                        ; -- End function
	.set _ZN2at6native12_GLOBAL__N_131weight_norm_fwd_last_dim_kernelIddEEvPT_PT0_PKS3_S8_ii.num_vgpr, 17
	.set _ZN2at6native12_GLOBAL__N_131weight_norm_fwd_last_dim_kernelIddEEvPT_PT0_PKS3_S8_ii.num_agpr, 0
	.set _ZN2at6native12_GLOBAL__N_131weight_norm_fwd_last_dim_kernelIddEEvPT_PT0_PKS3_S8_ii.numbered_sgpr, 17
	.set _ZN2at6native12_GLOBAL__N_131weight_norm_fwd_last_dim_kernelIddEEvPT_PT0_PKS3_S8_ii.num_named_barrier, 0
	.set _ZN2at6native12_GLOBAL__N_131weight_norm_fwd_last_dim_kernelIddEEvPT_PT0_PKS3_S8_ii.private_seg_size, 0
	.set _ZN2at6native12_GLOBAL__N_131weight_norm_fwd_last_dim_kernelIddEEvPT_PT0_PKS3_S8_ii.uses_vcc, 1
	.set _ZN2at6native12_GLOBAL__N_131weight_norm_fwd_last_dim_kernelIddEEvPT_PT0_PKS3_S8_ii.uses_flat_scratch, 0
	.set _ZN2at6native12_GLOBAL__N_131weight_norm_fwd_last_dim_kernelIddEEvPT_PT0_PKS3_S8_ii.has_dyn_sized_stack, 0
	.set _ZN2at6native12_GLOBAL__N_131weight_norm_fwd_last_dim_kernelIddEEvPT_PT0_PKS3_S8_ii.has_recursion, 0
	.set _ZN2at6native12_GLOBAL__N_131weight_norm_fwd_last_dim_kernelIddEEvPT_PT0_PKS3_S8_ii.has_indirect_call, 0
	.section	.AMDGPU.csdata,"",@progbits
; Kernel info:
; codeLenInByte = 1248
; TotalNumSgprs: 19
; NumVgprs: 17
; ScratchSize: 0
; MemoryBound: 0
; FloatMode: 240
; IeeeMode: 1
; LDSByteSize: 0 bytes/workgroup (compile time only)
; SGPRBlocks: 0
; VGPRBlocks: 2
; NumSGPRsForWavesPerEU: 19
; NumVGPRsForWavesPerEU: 17
; Occupancy: 16
; WaveLimiterHint : 0
; COMPUTE_PGM_RSRC2:SCRATCH_EN: 0
; COMPUTE_PGM_RSRC2:USER_SGPR: 2
; COMPUTE_PGM_RSRC2:TRAP_HANDLER: 0
; COMPUTE_PGM_RSRC2:TGID_X_EN: 1
; COMPUTE_PGM_RSRC2:TGID_Y_EN: 0
; COMPUTE_PGM_RSRC2:TGID_Z_EN: 0
; COMPUTE_PGM_RSRC2:TIDIG_COMP_CNT: 1
	.section	.text._ZN2at6native12_GLOBAL__N_131weight_norm_fwd_last_dim_kernelIffEEvPT_PT0_PKS3_S8_ii,"axG",@progbits,_ZN2at6native12_GLOBAL__N_131weight_norm_fwd_last_dim_kernelIffEEvPT_PT0_PKS3_S8_ii,comdat
	.globl	_ZN2at6native12_GLOBAL__N_131weight_norm_fwd_last_dim_kernelIffEEvPT_PT0_PKS3_S8_ii ; -- Begin function _ZN2at6native12_GLOBAL__N_131weight_norm_fwd_last_dim_kernelIffEEvPT_PT0_PKS3_S8_ii
	.p2align	8
	.type	_ZN2at6native12_GLOBAL__N_131weight_norm_fwd_last_dim_kernelIffEEvPT_PT0_PKS3_S8_ii,@function
_ZN2at6native12_GLOBAL__N_131weight_norm_fwd_last_dim_kernelIffEEvPT_PT0_PKS3_S8_ii: ; @_ZN2at6native12_GLOBAL__N_131weight_norm_fwd_last_dim_kernelIffEEvPT_PT0_PKS3_S8_ii
; %bb.0:
	s_clause 0x1
	s_load_b32 s12, s[0:1], 0x34
	s_load_b64 s[2:3], s[0:1], 0x20
	v_and_b32_e32 v2, 0x3ff, v0
	s_load_b256 s[4:11], s[0:1], 0x0
	v_bfe_u32 v6, v0, 10, 10
	s_wait_kmcnt 0x0
	s_and_b32 s13, s12, 0xffff
	s_delay_alu instid0(VALU_DEP_1)
	v_cmp_gt_i32_e64 s0, s3, v6
	v_mad_co_u64_u32 v[3:4], null, ttmp9, s13, v[2:3]
	s_lshr_b32 s1, s12, 16
	v_mad_co_u64_u32 v[0:1], null, s2, v6, v[3:4]
	v_cmp_gt_i32_e32 vcc_lo, s2, v3
	v_mov_b32_e32 v1, 0
	s_wait_alu 0xfffe
	s_mul_i32 s2, s2, s1
	s_and_b32 s12, vcc_lo, s0
	s_wait_alu 0xfffe
	s_and_saveexec_b32 s0, s12
	s_cbranch_execz .LBB5_4
; %bb.1:
	v_dual_mov_b32 v1, 0 :: v_dual_mov_b32 v4, v0
	v_mov_b32_e32 v7, v6
	s_mov_b32 s14, 0
.LBB5_2:                                ; =>This Inner Loop Header: Depth=1
	s_delay_alu instid0(VALU_DEP_2) | instskip(NEXT) | instid1(VALU_DEP_2)
	v_ashrrev_i32_e32 v5, 31, v4
	v_add_nc_u32_e32 v7, s1, v7
	s_delay_alu instid0(VALU_DEP_2) | instskip(SKIP_1) | instid1(VALU_DEP_2)
	v_lshlrev_b64_e32 v[8:9], 2, v[4:5]
	v_add_nc_u32_e32 v4, s2, v4
	v_add_co_u32 v8, vcc_lo, s8, v8
	s_wait_alu 0xfffd
	s_delay_alu instid0(VALU_DEP_3)
	v_add_co_ci_u32_e64 v9, null, s9, v9, vcc_lo
	v_cmp_le_i32_e32 vcc_lo, s3, v7
	global_load_b32 v5, v[8:9], off
	s_or_b32 s14, vcc_lo, s14
	s_wait_loadcnt 0x0
	v_fmac_f32_e32 v1, v5, v5
	s_and_not1_b32 exec_lo, exec_lo, s14
	s_cbranch_execnz .LBB5_2
; %bb.3:
	s_or_b32 exec_lo, exec_lo, s14
.LBB5_4:
	s_wait_alu 0xfffe
	s_or_b32 exec_lo, exec_lo, s0
	v_mad_u32_u24 v5, v6, s13, v2
	s_mul_i32 s0, s1, s13
	s_wait_alu 0xfffe
	s_cmp_gt_i32 s0, 63
	s_cselect_b32 s15, -1, 0
	v_lshl_add_u32 v4, v5, 2, 0
	s_cmp_lt_i32 s0, 64
	s_cbranch_scc1 .LBB5_6
; %bb.5:
	ds_store_b32 v4, v1
	s_wait_dscnt 0x0
	s_barrier_signal -1
	s_barrier_wait -1
	global_inv scope:SCOPE_SE
.LBB5_6:
	s_ashr_i32 s14, s0, 1
	s_delay_alu instid0(SALU_CYCLE_1)
	s_cmp_lt_i32 s14, 64
	s_cbranch_scc0 .LBB5_22
.LBB5_7:
	s_mov_b32 s14, exec_lo
	v_cmpx_gt_u32_e32 32, v5
	s_cbranch_execz .LBB5_15
; %bb.8:
	s_and_not1_b32 vcc_lo, exec_lo, s15
	s_wait_alu 0xfffe
	s_cbranch_vccnz .LBB5_10
; %bb.9:
	ds_load_2addr_b32 v[7:8], v4 offset1:32
	s_wait_dscnt 0x0
	v_add_f32_e32 v1, v7, v8
.LBB5_10:
	s_cmp_gt_u32 s13, 16
	s_mov_b32 s15, 16
	s_cbranch_scc1 .LBB5_13
; %bb.11:
	v_mbcnt_lo_u32_b32 v7, -1, 0
	s_delay_alu instid0(VALU_DEP_1)
	v_sub_nc_u32_e32 v8, 32, v7
.LBB5_12:                               ; =>This Inner Loop Header: Depth=1
	s_wait_alu 0xfffe
	s_delay_alu instid0(VALU_DEP_1)
	v_cmp_lt_u32_e32 vcc_lo, s15, v8
	s_wait_alu 0xfffd
	v_cndmask_b32_e64 v9, 0, s15, vcc_lo
	s_lshr_b32 s15, s15, 1
	s_wait_alu 0xfffe
	s_cmp_lt_u32 s15, s13
	s_delay_alu instid0(VALU_DEP_1)
	v_add_lshl_u32 v9, v9, v7, 2
	ds_bpermute_b32 v9, v9, v1
	s_wait_dscnt 0x0
	v_add_f32_e32 v1, v1, v9
	s_cbranch_scc0 .LBB5_12
.LBB5_13:
	v_cmp_gt_u32_e32 vcc_lo, s13, v5
	s_and_b32 exec_lo, exec_lo, vcc_lo
; %bb.14:
	ds_store_b32 v4, v1
.LBB5_15:
	s_wait_alu 0xfffe
	s_or_b32 exec_lo, exec_lo, s14
	v_ashrrev_i32_e32 v4, 31, v3
	s_mov_b32 s13, exec_lo
	s_lshl_b32 s0, s0, 2
	s_wait_loadcnt_dscnt 0x0
	s_barrier_signal -1
	s_barrier_wait -1
	global_inv scope:SCOPE_SE
	v_cmpx_ne_u32_e32 0, v6
	s_wait_alu 0xfffe
	s_xor_b32 s13, exec_lo, s13
	s_wait_alu 0xfffe
	s_or_saveexec_b32 s14, s13
	s_add_co_i32 s13, s0, 0
	s_wait_alu 0xfffe
	s_xor_b32 exec_lo, exec_lo, s14
	s_cbranch_execz .LBB5_17
; %bb.16:
	v_lshlrev_b32_e32 v1, 2, v2
	s_delay_alu instid0(VALU_DEP_1)
	v_add_nc_u32_e32 v5, 0, v1
	ds_load_b32 v5, v5
	s_wait_dscnt 0x0
	v_mul_f32_e32 v7, 0x4f800000, v5
	v_cmp_gt_f32_e32 vcc_lo, 0xf800000, v5
	s_wait_alu 0xfffd
	s_delay_alu instid0(VALU_DEP_2) | instskip(NEXT) | instid1(VALU_DEP_1)
	v_cndmask_b32_e32 v5, v5, v7, vcc_lo
	v_sqrt_f32_e32 v7, v5
	s_delay_alu instid0(TRANS32_DEP_1) | instskip(SKIP_1) | instid1(VALU_DEP_2)
	v_add_nc_u32_e32 v8, -1, v7
	v_add_nc_u32_e32 v9, 1, v7
	v_fma_f32 v10, -v8, v7, v5
	s_delay_alu instid0(VALU_DEP_2) | instskip(NEXT) | instid1(VALU_DEP_2)
	v_fma_f32 v11, -v9, v7, v5
	v_cmp_ge_f32_e64 s0, 0, v10
	s_wait_alu 0xf1ff
	s_delay_alu instid0(VALU_DEP_1) | instskip(NEXT) | instid1(VALU_DEP_3)
	v_cndmask_b32_e64 v7, v7, v8, s0
	v_cmp_lt_f32_e64 s0, 0, v11
	s_wait_alu 0xf1ff
	s_delay_alu instid0(VALU_DEP_1) | instskip(NEXT) | instid1(VALU_DEP_1)
	v_cndmask_b32_e64 v7, v7, v9, s0
	v_dual_mul_f32 v8, 0x37800000, v7 :: v_dual_add_nc_u32 v1, s13, v1
	s_delay_alu instid0(VALU_DEP_1) | instskip(SKIP_2) | instid1(VALU_DEP_2)
	v_cndmask_b32_e32 v7, v7, v8, vcc_lo
	v_cmp_class_f32_e64 vcc_lo, v5, 0x260
	s_wait_alu 0xfffd
	v_cndmask_b32_e32 v5, v7, v5, vcc_lo
	s_delay_alu instid0(VALU_DEP_1) | instskip(SKIP_1) | instid1(VALU_DEP_2)
	v_div_scale_f32 v7, null, v5, v5, 1.0
	v_div_scale_f32 v10, vcc_lo, 1.0, v5, 1.0
	v_rcp_f32_e32 v9, v7
	s_delay_alu instid0(TRANS32_DEP_1) | instskip(NEXT) | instid1(VALU_DEP_1)
	v_fma_f32 v8, -v7, v9, 1.0
	v_fmac_f32_e32 v9, v8, v9
	s_delay_alu instid0(VALU_DEP_1) | instskip(NEXT) | instid1(VALU_DEP_1)
	v_mul_f32_e32 v11, v10, v9
	v_fma_f32 v8, -v7, v11, v10
	s_delay_alu instid0(VALU_DEP_1) | instskip(NEXT) | instid1(VALU_DEP_1)
	v_fmac_f32_e32 v11, v8, v9
	v_fma_f32 v10, -v7, v11, v10
	v_lshlrev_b64_e32 v[7:8], 2, v[3:4]
	s_wait_alu 0xfffd
	s_delay_alu instid0(VALU_DEP_2) | instskip(NEXT) | instid1(VALU_DEP_2)
	v_div_fmas_f32 v9, v10, v9, v11
	v_add_co_u32 v7, vcc_lo, s6, v7
	s_wait_alu 0xfffd
	s_delay_alu instid0(VALU_DEP_3) | instskip(NEXT) | instid1(VALU_DEP_3)
	v_add_co_ci_u32_e64 v8, null, s7, v8, vcc_lo
	v_div_fixup_f32 v9, v9, v5, 1.0
	global_store_b32 v[7:8], v5, off
	ds_store_b32 v1, v9
.LBB5_17:
	s_or_b32 exec_lo, exec_lo, s14
	s_wait_storecnt 0x0
	s_wait_loadcnt_dscnt 0x0
	s_barrier_signal -1
	s_barrier_wait -1
	global_inv scope:SCOPE_SE
	s_and_saveexec_b32 s0, s12
	s_cbranch_execz .LBB5_20
; %bb.18:
	v_lshlrev_b64_e32 v[3:4], 2, v[3:4]
	v_lshl_add_u32 v1, v2, 2, s13
	s_mov_b32 s6, 0
	ds_load_b32 v2, v1
	v_add_co_u32 v3, vcc_lo, s10, v3
	s_wait_alu 0xfffd
	v_add_co_ci_u32_e64 v4, null, s11, v4, vcc_lo
	global_load_b32 v3, v[3:4], off
.LBB5_19:                               ; =>This Inner Loop Header: Depth=1
	v_ashrrev_i32_e32 v1, 31, v0
	s_delay_alu instid0(VALU_DEP_1) | instskip(SKIP_1) | instid1(VALU_DEP_2)
	v_lshlrev_b64_e32 v[4:5], 2, v[0:1]
	v_add_nc_u32_e32 v0, s2, v0
	v_add_co_u32 v7, vcc_lo, s8, v4
	s_wait_alu 0xfffd
	s_delay_alu instid0(VALU_DEP_3)
	v_add_co_ci_u32_e64 v8, null, s9, v5, vcc_lo
	v_add_co_u32 v4, s0, s4, v4
	s_wait_alu 0xf1fe
	v_add_co_ci_u32_e64 v5, null, s5, v5, s0
	global_load_b32 v1, v[7:8], off
	s_wait_loadcnt 0x0
	v_dual_mul_f32 v1, v3, v1 :: v_dual_add_nc_u32 v6, s1, v6
	s_delay_alu instid0(VALU_DEP_1) | instskip(SKIP_1) | instid1(VALU_DEP_2)
	v_cmp_le_i32_e32 vcc_lo, s3, v6
	s_wait_dscnt 0x0
	v_mul_f32_e32 v1, v2, v1
	s_or_b32 s6, vcc_lo, s6
	global_store_b32 v[4:5], v1, off
	s_wait_alu 0xfffe
	s_and_not1_b32 exec_lo, exec_lo, s6
	s_cbranch_execnz .LBB5_19
.LBB5_20:
	s_endpgm
.LBB5_21:                               ;   in Loop: Header=BB5_22 Depth=1
	s_or_b32 exec_lo, exec_lo, s16
	s_lshr_b32 s16, s14, 1
	s_cmp_lt_u32 s14, 0x80
	s_mov_b32 s14, s16
	s_wait_loadcnt_dscnt 0x0
	s_barrier_signal -1
	s_barrier_wait -1
	global_inv scope:SCOPE_SE
	s_cbranch_scc1 .LBB5_7
.LBB5_22:                               ; =>This Inner Loop Header: Depth=1
	s_mov_b32 s16, exec_lo
	s_wait_alu 0xfffe
	v_cmpx_gt_i32_e64 s14, v5
	s_cbranch_execz .LBB5_21
; %bb.23:                               ;   in Loop: Header=BB5_22 Depth=1
	v_lshl_add_u32 v7, s14, 2, v4
	ds_load_b32 v8, v4
	ds_load_b32 v7, v7
	s_wait_dscnt 0x0
	v_add_f32_e32 v7, v8, v7
	ds_store_b32 v4, v7
	s_branch .LBB5_21
	.section	.rodata,"a",@progbits
	.p2align	6, 0x0
	.amdhsa_kernel _ZN2at6native12_GLOBAL__N_131weight_norm_fwd_last_dim_kernelIffEEvPT_PT0_PKS3_S8_ii
		.amdhsa_group_segment_fixed_size 0
		.amdhsa_private_segment_fixed_size 0
		.amdhsa_kernarg_size 296
		.amdhsa_user_sgpr_count 2
		.amdhsa_user_sgpr_dispatch_ptr 0
		.amdhsa_user_sgpr_queue_ptr 0
		.amdhsa_user_sgpr_kernarg_segment_ptr 1
		.amdhsa_user_sgpr_dispatch_id 0
		.amdhsa_user_sgpr_private_segment_size 0
		.amdhsa_wavefront_size32 1
		.amdhsa_uses_dynamic_stack 0
		.amdhsa_enable_private_segment 0
		.amdhsa_system_sgpr_workgroup_id_x 1
		.amdhsa_system_sgpr_workgroup_id_y 0
		.amdhsa_system_sgpr_workgroup_id_z 0
		.amdhsa_system_sgpr_workgroup_info 0
		.amdhsa_system_vgpr_workitem_id 1
		.amdhsa_next_free_vgpr 12
		.amdhsa_next_free_sgpr 17
		.amdhsa_reserve_vcc 1
		.amdhsa_float_round_mode_32 0
		.amdhsa_float_round_mode_16_64 0
		.amdhsa_float_denorm_mode_32 3
		.amdhsa_float_denorm_mode_16_64 3
		.amdhsa_fp16_overflow 0
		.amdhsa_workgroup_processor_mode 1
		.amdhsa_memory_ordered 1
		.amdhsa_forward_progress 1
		.amdhsa_inst_pref_size 10
		.amdhsa_round_robin_scheduling 0
		.amdhsa_exception_fp_ieee_invalid_op 0
		.amdhsa_exception_fp_denorm_src 0
		.amdhsa_exception_fp_ieee_div_zero 0
		.amdhsa_exception_fp_ieee_overflow 0
		.amdhsa_exception_fp_ieee_underflow 0
		.amdhsa_exception_fp_ieee_inexact 0
		.amdhsa_exception_int_div_zero 0
	.end_amdhsa_kernel
	.section	.text._ZN2at6native12_GLOBAL__N_131weight_norm_fwd_last_dim_kernelIffEEvPT_PT0_PKS3_S8_ii,"axG",@progbits,_ZN2at6native12_GLOBAL__N_131weight_norm_fwd_last_dim_kernelIffEEvPT_PT0_PKS3_S8_ii,comdat
.Lfunc_end5:
	.size	_ZN2at6native12_GLOBAL__N_131weight_norm_fwd_last_dim_kernelIffEEvPT_PT0_PKS3_S8_ii, .Lfunc_end5-_ZN2at6native12_GLOBAL__N_131weight_norm_fwd_last_dim_kernelIffEEvPT_PT0_PKS3_S8_ii
                                        ; -- End function
	.set _ZN2at6native12_GLOBAL__N_131weight_norm_fwd_last_dim_kernelIffEEvPT_PT0_PKS3_S8_ii.num_vgpr, 12
	.set _ZN2at6native12_GLOBAL__N_131weight_norm_fwd_last_dim_kernelIffEEvPT_PT0_PKS3_S8_ii.num_agpr, 0
	.set _ZN2at6native12_GLOBAL__N_131weight_norm_fwd_last_dim_kernelIffEEvPT_PT0_PKS3_S8_ii.numbered_sgpr, 17
	.set _ZN2at6native12_GLOBAL__N_131weight_norm_fwd_last_dim_kernelIffEEvPT_PT0_PKS3_S8_ii.num_named_barrier, 0
	.set _ZN2at6native12_GLOBAL__N_131weight_norm_fwd_last_dim_kernelIffEEvPT_PT0_PKS3_S8_ii.private_seg_size, 0
	.set _ZN2at6native12_GLOBAL__N_131weight_norm_fwd_last_dim_kernelIffEEvPT_PT0_PKS3_S8_ii.uses_vcc, 1
	.set _ZN2at6native12_GLOBAL__N_131weight_norm_fwd_last_dim_kernelIffEEvPT_PT0_PKS3_S8_ii.uses_flat_scratch, 0
	.set _ZN2at6native12_GLOBAL__N_131weight_norm_fwd_last_dim_kernelIffEEvPT_PT0_PKS3_S8_ii.has_dyn_sized_stack, 0
	.set _ZN2at6native12_GLOBAL__N_131weight_norm_fwd_last_dim_kernelIffEEvPT_PT0_PKS3_S8_ii.has_recursion, 0
	.set _ZN2at6native12_GLOBAL__N_131weight_norm_fwd_last_dim_kernelIffEEvPT_PT0_PKS3_S8_ii.has_indirect_call, 0
	.section	.AMDGPU.csdata,"",@progbits
; Kernel info:
; codeLenInByte = 1212
; TotalNumSgprs: 19
; NumVgprs: 12
; ScratchSize: 0
; MemoryBound: 0
; FloatMode: 240
; IeeeMode: 1
; LDSByteSize: 0 bytes/workgroup (compile time only)
; SGPRBlocks: 0
; VGPRBlocks: 1
; NumSGPRsForWavesPerEU: 19
; NumVGPRsForWavesPerEU: 12
; Occupancy: 16
; WaveLimiterHint : 0
; COMPUTE_PGM_RSRC2:SCRATCH_EN: 0
; COMPUTE_PGM_RSRC2:USER_SGPR: 2
; COMPUTE_PGM_RSRC2:TRAP_HANDLER: 0
; COMPUTE_PGM_RSRC2:TGID_X_EN: 1
; COMPUTE_PGM_RSRC2:TGID_Y_EN: 0
; COMPUTE_PGM_RSRC2:TGID_Z_EN: 0
; COMPUTE_PGM_RSRC2:TIDIG_COMP_CNT: 1
	.section	.text._ZN2at6native12_GLOBAL__N_131weight_norm_fwd_last_dim_kernelIN3c108BFloat16EfEEvPT_PT0_PKS5_SA_ii,"axG",@progbits,_ZN2at6native12_GLOBAL__N_131weight_norm_fwd_last_dim_kernelIN3c108BFloat16EfEEvPT_PT0_PKS5_SA_ii,comdat
	.globl	_ZN2at6native12_GLOBAL__N_131weight_norm_fwd_last_dim_kernelIN3c108BFloat16EfEEvPT_PT0_PKS5_SA_ii ; -- Begin function _ZN2at6native12_GLOBAL__N_131weight_norm_fwd_last_dim_kernelIN3c108BFloat16EfEEvPT_PT0_PKS5_SA_ii
	.p2align	8
	.type	_ZN2at6native12_GLOBAL__N_131weight_norm_fwd_last_dim_kernelIN3c108BFloat16EfEEvPT_PT0_PKS5_SA_ii,@function
_ZN2at6native12_GLOBAL__N_131weight_norm_fwd_last_dim_kernelIN3c108BFloat16EfEEvPT_PT0_PKS5_SA_ii: ; @_ZN2at6native12_GLOBAL__N_131weight_norm_fwd_last_dim_kernelIN3c108BFloat16EfEEvPT_PT0_PKS5_SA_ii
; %bb.0:
	s_clause 0x1
	s_load_b32 s12, s[0:1], 0x34
	s_load_b64 s[2:3], s[0:1], 0x20
	v_and_b32_e32 v2, 0x3ff, v0
	s_load_b256 s[4:11], s[0:1], 0x0
	v_bfe_u32 v6, v0, 10, 10
	s_wait_kmcnt 0x0
	s_and_b32 s13, s12, 0xffff
	s_delay_alu instid0(VALU_DEP_1)
	v_cmp_gt_i32_e64 s0, s3, v6
	v_mad_co_u64_u32 v[3:4], null, ttmp9, s13, v[2:3]
	s_lshr_b32 s1, s12, 16
	v_mad_co_u64_u32 v[0:1], null, s2, v6, v[3:4]
	v_cmp_gt_i32_e32 vcc_lo, s2, v3
	v_mov_b32_e32 v1, 0
	s_wait_alu 0xfffe
	s_mul_i32 s2, s2, s1
	s_and_b32 s12, vcc_lo, s0
	s_wait_alu 0xfffe
	s_and_saveexec_b32 s0, s12
	s_cbranch_execz .LBB6_4
; %bb.1:
	v_dual_mov_b32 v1, 0 :: v_dual_mov_b32 v4, v0
	v_mov_b32_e32 v7, v6
	s_mov_b32 s14, 0
.LBB6_2:                                ; =>This Inner Loop Header: Depth=1
	s_delay_alu instid0(VALU_DEP_2) | instskip(NEXT) | instid1(VALU_DEP_2)
	v_ashrrev_i32_e32 v5, 31, v4
	v_add_nc_u32_e32 v7, s1, v7
	s_delay_alu instid0(VALU_DEP_2) | instskip(SKIP_1) | instid1(VALU_DEP_2)
	v_lshlrev_b64_e32 v[8:9], 1, v[4:5]
	v_add_nc_u32_e32 v4, s2, v4
	v_add_co_u32 v8, vcc_lo, s8, v8
	s_wait_alu 0xfffd
	s_delay_alu instid0(VALU_DEP_3)
	v_add_co_ci_u32_e64 v9, null, s9, v9, vcc_lo
	v_cmp_le_i32_e32 vcc_lo, s3, v7
	global_load_u16 v5, v[8:9], off
	s_or_b32 s14, vcc_lo, s14
	s_wait_loadcnt 0x0
	v_lshlrev_b32_e32 v5, 16, v5
	s_delay_alu instid0(VALU_DEP_1)
	v_fmac_f32_e32 v1, v5, v5
	s_and_not1_b32 exec_lo, exec_lo, s14
	s_cbranch_execnz .LBB6_2
; %bb.3:
	s_or_b32 exec_lo, exec_lo, s14
.LBB6_4:
	s_wait_alu 0xfffe
	s_or_b32 exec_lo, exec_lo, s0
	v_mad_u32_u24 v5, v6, s13, v2
	s_mul_i32 s0, s1, s13
	s_wait_alu 0xfffe
	s_cmp_gt_i32 s0, 63
	s_cselect_b32 s15, -1, 0
	v_lshl_add_u32 v4, v5, 2, 0
	s_cmp_lt_i32 s0, 64
	s_cbranch_scc1 .LBB6_6
; %bb.5:
	ds_store_b32 v4, v1
	s_wait_dscnt 0x0
	s_barrier_signal -1
	s_barrier_wait -1
	global_inv scope:SCOPE_SE
.LBB6_6:
	s_ashr_i32 s14, s0, 1
	s_delay_alu instid0(SALU_CYCLE_1)
	s_cmp_lt_i32 s14, 64
	s_cbranch_scc0 .LBB6_22
.LBB6_7:
	s_mov_b32 s14, exec_lo
	v_cmpx_gt_u32_e32 32, v5
	s_cbranch_execz .LBB6_15
; %bb.8:
	s_and_not1_b32 vcc_lo, exec_lo, s15
	s_wait_alu 0xfffe
	s_cbranch_vccnz .LBB6_10
; %bb.9:
	ds_load_2addr_b32 v[7:8], v4 offset1:32
	s_wait_dscnt 0x0
	v_add_f32_e32 v1, v7, v8
.LBB6_10:
	s_cmp_gt_u32 s13, 16
	s_mov_b32 s15, 16
	s_cbranch_scc1 .LBB6_13
; %bb.11:
	v_mbcnt_lo_u32_b32 v7, -1, 0
	s_delay_alu instid0(VALU_DEP_1)
	v_sub_nc_u32_e32 v8, 32, v7
.LBB6_12:                               ; =>This Inner Loop Header: Depth=1
	s_wait_alu 0xfffe
	s_delay_alu instid0(VALU_DEP_1)
	v_cmp_lt_u32_e32 vcc_lo, s15, v8
	s_wait_alu 0xfffd
	v_cndmask_b32_e64 v9, 0, s15, vcc_lo
	s_lshr_b32 s15, s15, 1
	s_wait_alu 0xfffe
	s_cmp_lt_u32 s15, s13
	s_delay_alu instid0(VALU_DEP_1)
	v_add_lshl_u32 v9, v9, v7, 2
	ds_bpermute_b32 v9, v9, v1
	s_wait_dscnt 0x0
	v_add_f32_e32 v1, v1, v9
	s_cbranch_scc0 .LBB6_12
.LBB6_13:
	v_cmp_gt_u32_e32 vcc_lo, s13, v5
	s_and_b32 exec_lo, exec_lo, vcc_lo
; %bb.14:
	ds_store_b32 v4, v1
.LBB6_15:
	s_wait_alu 0xfffe
	s_or_b32 exec_lo, exec_lo, s14
	v_ashrrev_i32_e32 v4, 31, v3
	s_mov_b32 s13, exec_lo
	s_lshl_b32 s0, s0, 2
	s_wait_loadcnt_dscnt 0x0
	s_barrier_signal -1
	s_barrier_wait -1
	global_inv scope:SCOPE_SE
	v_cmpx_ne_u32_e32 0, v6
	s_wait_alu 0xfffe
	s_xor_b32 s13, exec_lo, s13
	s_wait_alu 0xfffe
	s_or_saveexec_b32 s14, s13
	s_add_co_i32 s13, s0, 0
	s_wait_alu 0xfffe
	s_xor_b32 exec_lo, exec_lo, s14
	s_cbranch_execz .LBB6_17
; %bb.16:
	v_lshlrev_b32_e32 v1, 2, v2
	s_delay_alu instid0(VALU_DEP_1)
	v_add_nc_u32_e32 v5, 0, v1
	ds_load_b32 v5, v5
	s_wait_dscnt 0x0
	v_mul_f32_e32 v7, 0x4f800000, v5
	v_cmp_gt_f32_e32 vcc_lo, 0xf800000, v5
	s_wait_alu 0xfffd
	s_delay_alu instid0(VALU_DEP_2) | instskip(NEXT) | instid1(VALU_DEP_1)
	v_cndmask_b32_e32 v5, v5, v7, vcc_lo
	v_sqrt_f32_e32 v7, v5
	s_delay_alu instid0(TRANS32_DEP_1) | instskip(SKIP_1) | instid1(VALU_DEP_2)
	v_add_nc_u32_e32 v8, -1, v7
	v_add_nc_u32_e32 v9, 1, v7
	v_fma_f32 v10, -v8, v7, v5
	s_delay_alu instid0(VALU_DEP_2) | instskip(NEXT) | instid1(VALU_DEP_2)
	v_fma_f32 v11, -v9, v7, v5
	v_cmp_ge_f32_e64 s0, 0, v10
	s_wait_alu 0xf1ff
	s_delay_alu instid0(VALU_DEP_1) | instskip(NEXT) | instid1(VALU_DEP_3)
	v_cndmask_b32_e64 v7, v7, v8, s0
	v_cmp_lt_f32_e64 s0, 0, v11
	s_wait_alu 0xf1ff
	s_delay_alu instid0(VALU_DEP_1) | instskip(NEXT) | instid1(VALU_DEP_1)
	v_cndmask_b32_e64 v7, v7, v9, s0
	v_dual_mul_f32 v8, 0x37800000, v7 :: v_dual_add_nc_u32 v1, s13, v1
	s_delay_alu instid0(VALU_DEP_1) | instskip(SKIP_2) | instid1(VALU_DEP_2)
	v_cndmask_b32_e32 v7, v7, v8, vcc_lo
	v_cmp_class_f32_e64 vcc_lo, v5, 0x260
	s_wait_alu 0xfffd
	v_cndmask_b32_e32 v5, v7, v5, vcc_lo
	s_delay_alu instid0(VALU_DEP_1) | instskip(SKIP_1) | instid1(VALU_DEP_2)
	v_div_scale_f32 v7, null, v5, v5, 1.0
	v_div_scale_f32 v10, vcc_lo, 1.0, v5, 1.0
	v_rcp_f32_e32 v9, v7
	s_delay_alu instid0(TRANS32_DEP_1) | instskip(NEXT) | instid1(VALU_DEP_1)
	v_fma_f32 v8, -v7, v9, 1.0
	v_fmac_f32_e32 v9, v8, v9
	s_delay_alu instid0(VALU_DEP_1) | instskip(NEXT) | instid1(VALU_DEP_1)
	v_mul_f32_e32 v11, v10, v9
	v_fma_f32 v8, -v7, v11, v10
	s_delay_alu instid0(VALU_DEP_1) | instskip(NEXT) | instid1(VALU_DEP_1)
	v_fmac_f32_e32 v11, v8, v9
	v_fma_f32 v10, -v7, v11, v10
	v_lshlrev_b64_e32 v[7:8], 2, v[3:4]
	s_wait_alu 0xfffd
	s_delay_alu instid0(VALU_DEP_2) | instskip(NEXT) | instid1(VALU_DEP_2)
	v_div_fmas_f32 v9, v10, v9, v11
	v_add_co_u32 v7, vcc_lo, s6, v7
	s_wait_alu 0xfffd
	s_delay_alu instid0(VALU_DEP_3) | instskip(NEXT) | instid1(VALU_DEP_3)
	v_add_co_ci_u32_e64 v8, null, s7, v8, vcc_lo
	v_div_fixup_f32 v9, v9, v5, 1.0
	global_store_b32 v[7:8], v5, off
	ds_store_b32 v1, v9
.LBB6_17:
	s_or_b32 exec_lo, exec_lo, s14
	s_wait_storecnt 0x0
	s_wait_loadcnt_dscnt 0x0
	s_barrier_signal -1
	s_barrier_wait -1
	global_inv scope:SCOPE_SE
	s_and_saveexec_b32 s0, s12
	s_cbranch_execz .LBB6_20
; %bb.18:
	v_lshlrev_b64_e32 v[3:4], 1, v[3:4]
	v_lshl_add_u32 v2, v2, 2, s13
	s_mov_b32 s6, 0
	ds_load_b32 v2, v2
	v_add_co_u32 v3, vcc_lo, s10, v3
	s_wait_alu 0xfffd
	v_add_co_ci_u32_e64 v4, null, s11, v4, vcc_lo
	global_load_u16 v1, v[3:4], off
	s_wait_loadcnt 0x0
	v_lshlrev_b32_e32 v3, 16, v1
.LBB6_19:                               ; =>This Inner Loop Header: Depth=1
	v_ashrrev_i32_e32 v1, 31, v0
	v_add_nc_u32_e32 v6, s1, v6
	s_delay_alu instid0(VALU_DEP_2) | instskip(SKIP_1) | instid1(VALU_DEP_2)
	v_lshlrev_b64_e32 v[4:5], 1, v[0:1]
	v_add_nc_u32_e32 v0, s2, v0
	v_add_co_u32 v7, vcc_lo, s8, v4
	s_wait_alu 0xfffd
	s_delay_alu instid0(VALU_DEP_3)
	v_add_co_ci_u32_e64 v8, null, s9, v5, vcc_lo
	v_cmp_le_i32_e32 vcc_lo, s3, v6
	global_load_u16 v1, v[7:8], off
	s_wait_alu 0xfffe
	s_or_b32 s6, vcc_lo, s6
	s_wait_loadcnt 0x0
	v_lshlrev_b32_e32 v1, 16, v1
	s_delay_alu instid0(VALU_DEP_1) | instskip(SKIP_1) | instid1(VALU_DEP_1)
	v_mul_f32_e32 v1, v3, v1
	s_wait_dscnt 0x0
	v_mul_f32_e32 v1, v2, v1
	s_delay_alu instid0(VALU_DEP_1) | instskip(SKIP_1) | instid1(VALU_DEP_2)
	v_bfe_u32 v7, v1, 16, 1
	v_cmp_o_f32_e64 s0, v1, v1
	v_add3_u32 v7, v1, v7, 0x7fff
	s_delay_alu instid0(VALU_DEP_1) | instskip(SKIP_1) | instid1(VALU_DEP_1)
	v_lshrrev_b32_e32 v7, 16, v7
	s_wait_alu 0xf1ff
	v_cndmask_b32_e64 v1, 0x7fc0, v7, s0
	v_add_co_u32 v4, s0, s4, v4
	s_wait_alu 0xf1ff
	v_add_co_ci_u32_e64 v5, null, s5, v5, s0
	global_store_b16 v[4:5], v1, off
	s_wait_alu 0xfffe
	s_and_not1_b32 exec_lo, exec_lo, s6
	s_cbranch_execnz .LBB6_19
.LBB6_20:
	s_endpgm
.LBB6_21:                               ;   in Loop: Header=BB6_22 Depth=1
	s_or_b32 exec_lo, exec_lo, s16
	s_lshr_b32 s16, s14, 1
	s_cmp_lt_u32 s14, 0x80
	s_mov_b32 s14, s16
	s_wait_loadcnt_dscnt 0x0
	s_barrier_signal -1
	s_barrier_wait -1
	global_inv scope:SCOPE_SE
	s_cbranch_scc1 .LBB6_7
.LBB6_22:                               ; =>This Inner Loop Header: Depth=1
	s_mov_b32 s16, exec_lo
	s_wait_alu 0xfffe
	v_cmpx_gt_i32_e64 s14, v5
	s_cbranch_execz .LBB6_21
; %bb.23:                               ;   in Loop: Header=BB6_22 Depth=1
	v_lshl_add_u32 v7, s14, 2, v4
	ds_load_b32 v8, v4
	ds_load_b32 v7, v7
	s_wait_dscnt 0x0
	v_add_f32_e32 v7, v8, v7
	ds_store_b32 v4, v7
	s_branch .LBB6_21
	.section	.rodata,"a",@progbits
	.p2align	6, 0x0
	.amdhsa_kernel _ZN2at6native12_GLOBAL__N_131weight_norm_fwd_last_dim_kernelIN3c108BFloat16EfEEvPT_PT0_PKS5_SA_ii
		.amdhsa_group_segment_fixed_size 0
		.amdhsa_private_segment_fixed_size 0
		.amdhsa_kernarg_size 296
		.amdhsa_user_sgpr_count 2
		.amdhsa_user_sgpr_dispatch_ptr 0
		.amdhsa_user_sgpr_queue_ptr 0
		.amdhsa_user_sgpr_kernarg_segment_ptr 1
		.amdhsa_user_sgpr_dispatch_id 0
		.amdhsa_user_sgpr_private_segment_size 0
		.amdhsa_wavefront_size32 1
		.amdhsa_uses_dynamic_stack 0
		.amdhsa_enable_private_segment 0
		.amdhsa_system_sgpr_workgroup_id_x 1
		.amdhsa_system_sgpr_workgroup_id_y 0
		.amdhsa_system_sgpr_workgroup_id_z 0
		.amdhsa_system_sgpr_workgroup_info 0
		.amdhsa_system_vgpr_workitem_id 1
		.amdhsa_next_free_vgpr 12
		.amdhsa_next_free_sgpr 17
		.amdhsa_reserve_vcc 1
		.amdhsa_float_round_mode_32 0
		.amdhsa_float_round_mode_16_64 0
		.amdhsa_float_denorm_mode_32 3
		.amdhsa_float_denorm_mode_16_64 3
		.amdhsa_fp16_overflow 0
		.amdhsa_workgroup_processor_mode 1
		.amdhsa_memory_ordered 1
		.amdhsa_forward_progress 1
		.amdhsa_inst_pref_size 11
		.amdhsa_round_robin_scheduling 0
		.amdhsa_exception_fp_ieee_invalid_op 0
		.amdhsa_exception_fp_denorm_src 0
		.amdhsa_exception_fp_ieee_div_zero 0
		.amdhsa_exception_fp_ieee_overflow 0
		.amdhsa_exception_fp_ieee_underflow 0
		.amdhsa_exception_fp_ieee_inexact 0
		.amdhsa_exception_int_div_zero 0
	.end_amdhsa_kernel
	.section	.text._ZN2at6native12_GLOBAL__N_131weight_norm_fwd_last_dim_kernelIN3c108BFloat16EfEEvPT_PT0_PKS5_SA_ii,"axG",@progbits,_ZN2at6native12_GLOBAL__N_131weight_norm_fwd_last_dim_kernelIN3c108BFloat16EfEEvPT_PT0_PKS5_SA_ii,comdat
.Lfunc_end6:
	.size	_ZN2at6native12_GLOBAL__N_131weight_norm_fwd_last_dim_kernelIN3c108BFloat16EfEEvPT_PT0_PKS5_SA_ii, .Lfunc_end6-_ZN2at6native12_GLOBAL__N_131weight_norm_fwd_last_dim_kernelIN3c108BFloat16EfEEvPT_PT0_PKS5_SA_ii
                                        ; -- End function
	.set _ZN2at6native12_GLOBAL__N_131weight_norm_fwd_last_dim_kernelIN3c108BFloat16EfEEvPT_PT0_PKS5_SA_ii.num_vgpr, 12
	.set _ZN2at6native12_GLOBAL__N_131weight_norm_fwd_last_dim_kernelIN3c108BFloat16EfEEvPT_PT0_PKS5_SA_ii.num_agpr, 0
	.set _ZN2at6native12_GLOBAL__N_131weight_norm_fwd_last_dim_kernelIN3c108BFloat16EfEEvPT_PT0_PKS5_SA_ii.numbered_sgpr, 17
	.set _ZN2at6native12_GLOBAL__N_131weight_norm_fwd_last_dim_kernelIN3c108BFloat16EfEEvPT_PT0_PKS5_SA_ii.num_named_barrier, 0
	.set _ZN2at6native12_GLOBAL__N_131weight_norm_fwd_last_dim_kernelIN3c108BFloat16EfEEvPT_PT0_PKS5_SA_ii.private_seg_size, 0
	.set _ZN2at6native12_GLOBAL__N_131weight_norm_fwd_last_dim_kernelIN3c108BFloat16EfEEvPT_PT0_PKS5_SA_ii.uses_vcc, 1
	.set _ZN2at6native12_GLOBAL__N_131weight_norm_fwd_last_dim_kernelIN3c108BFloat16EfEEvPT_PT0_PKS5_SA_ii.uses_flat_scratch, 0
	.set _ZN2at6native12_GLOBAL__N_131weight_norm_fwd_last_dim_kernelIN3c108BFloat16EfEEvPT_PT0_PKS5_SA_ii.has_dyn_sized_stack, 0
	.set _ZN2at6native12_GLOBAL__N_131weight_norm_fwd_last_dim_kernelIN3c108BFloat16EfEEvPT_PT0_PKS5_SA_ii.has_recursion, 0
	.set _ZN2at6native12_GLOBAL__N_131weight_norm_fwd_last_dim_kernelIN3c108BFloat16EfEEvPT_PT0_PKS5_SA_ii.has_indirect_call, 0
	.section	.AMDGPU.csdata,"",@progbits
; Kernel info:
; codeLenInByte = 1292
; TotalNumSgprs: 19
; NumVgprs: 12
; ScratchSize: 0
; MemoryBound: 0
; FloatMode: 240
; IeeeMode: 1
; LDSByteSize: 0 bytes/workgroup (compile time only)
; SGPRBlocks: 0
; VGPRBlocks: 1
; NumSGPRsForWavesPerEU: 19
; NumVGPRsForWavesPerEU: 12
; Occupancy: 16
; WaveLimiterHint : 0
; COMPUTE_PGM_RSRC2:SCRATCH_EN: 0
; COMPUTE_PGM_RSRC2:USER_SGPR: 2
; COMPUTE_PGM_RSRC2:TRAP_HANDLER: 0
; COMPUTE_PGM_RSRC2:TGID_X_EN: 1
; COMPUTE_PGM_RSRC2:TGID_Y_EN: 0
; COMPUTE_PGM_RSRC2:TGID_Z_EN: 0
; COMPUTE_PGM_RSRC2:TIDIG_COMP_CNT: 1
	.section	.text._ZN2at6native12_GLOBAL__N_131weight_norm_fwd_last_dim_kernelIN3c104HalfEfEEvPT_PT0_PKS5_SA_ii,"axG",@progbits,_ZN2at6native12_GLOBAL__N_131weight_norm_fwd_last_dim_kernelIN3c104HalfEfEEvPT_PT0_PKS5_SA_ii,comdat
	.globl	_ZN2at6native12_GLOBAL__N_131weight_norm_fwd_last_dim_kernelIN3c104HalfEfEEvPT_PT0_PKS5_SA_ii ; -- Begin function _ZN2at6native12_GLOBAL__N_131weight_norm_fwd_last_dim_kernelIN3c104HalfEfEEvPT_PT0_PKS5_SA_ii
	.p2align	8
	.type	_ZN2at6native12_GLOBAL__N_131weight_norm_fwd_last_dim_kernelIN3c104HalfEfEEvPT_PT0_PKS5_SA_ii,@function
_ZN2at6native12_GLOBAL__N_131weight_norm_fwd_last_dim_kernelIN3c104HalfEfEEvPT_PT0_PKS5_SA_ii: ; @_ZN2at6native12_GLOBAL__N_131weight_norm_fwd_last_dim_kernelIN3c104HalfEfEEvPT_PT0_PKS5_SA_ii
; %bb.0:
	s_clause 0x1
	s_load_b32 s12, s[0:1], 0x34
	s_load_b64 s[2:3], s[0:1], 0x20
	v_and_b32_e32 v2, 0x3ff, v0
	s_load_b256 s[4:11], s[0:1], 0x0
	v_bfe_u32 v6, v0, 10, 10
	s_wait_kmcnt 0x0
	s_and_b32 s13, s12, 0xffff
	s_delay_alu instid0(VALU_DEP_1)
	v_cmp_gt_i32_e64 s0, s3, v6
	v_mad_co_u64_u32 v[3:4], null, ttmp9, s13, v[2:3]
	s_lshr_b32 s1, s12, 16
	v_mad_co_u64_u32 v[0:1], null, s2, v6, v[3:4]
	v_cmp_gt_i32_e32 vcc_lo, s2, v3
	v_mov_b32_e32 v1, 0
	s_wait_alu 0xfffe
	s_mul_i32 s2, s2, s1
	s_and_b32 s12, vcc_lo, s0
	s_wait_alu 0xfffe
	s_and_saveexec_b32 s0, s12
	s_cbranch_execz .LBB7_4
; %bb.1:
	v_dual_mov_b32 v1, 0 :: v_dual_mov_b32 v4, v0
	v_mov_b32_e32 v7, v6
	s_mov_b32 s14, 0
.LBB7_2:                                ; =>This Inner Loop Header: Depth=1
	s_delay_alu instid0(VALU_DEP_2) | instskip(NEXT) | instid1(VALU_DEP_2)
	v_ashrrev_i32_e32 v5, 31, v4
	v_add_nc_u32_e32 v7, s1, v7
	s_delay_alu instid0(VALU_DEP_2) | instskip(SKIP_1) | instid1(VALU_DEP_2)
	v_lshlrev_b64_e32 v[8:9], 1, v[4:5]
	v_add_nc_u32_e32 v4, s2, v4
	v_add_co_u32 v8, vcc_lo, s8, v8
	s_wait_alu 0xfffd
	s_delay_alu instid0(VALU_DEP_3)
	v_add_co_ci_u32_e64 v9, null, s9, v9, vcc_lo
	v_cmp_le_i32_e32 vcc_lo, s3, v7
	global_load_u16 v5, v[8:9], off
	s_or_b32 s14, vcc_lo, s14
	s_wait_loadcnt 0x0
	v_fma_mix_f32 v1, v5, v5, v1 op_sel_hi:[1,1,0]
	s_and_not1_b32 exec_lo, exec_lo, s14
	s_cbranch_execnz .LBB7_2
; %bb.3:
	s_or_b32 exec_lo, exec_lo, s14
.LBB7_4:
	s_wait_alu 0xfffe
	s_or_b32 exec_lo, exec_lo, s0
	v_mad_u32_u24 v5, v6, s13, v2
	s_mul_i32 s0, s1, s13
	s_wait_alu 0xfffe
	s_cmp_gt_i32 s0, 63
	s_cselect_b32 s15, -1, 0
	v_lshl_add_u32 v4, v5, 2, 0
	s_cmp_lt_i32 s0, 64
	s_cbranch_scc1 .LBB7_6
; %bb.5:
	ds_store_b32 v4, v1
	s_wait_dscnt 0x0
	s_barrier_signal -1
	s_barrier_wait -1
	global_inv scope:SCOPE_SE
.LBB7_6:
	s_ashr_i32 s14, s0, 1
	s_delay_alu instid0(SALU_CYCLE_1)
	s_cmp_lt_i32 s14, 64
	s_cbranch_scc0 .LBB7_22
.LBB7_7:
	s_mov_b32 s14, exec_lo
	v_cmpx_gt_u32_e32 32, v5
	s_cbranch_execz .LBB7_15
; %bb.8:
	s_and_not1_b32 vcc_lo, exec_lo, s15
	s_wait_alu 0xfffe
	s_cbranch_vccnz .LBB7_10
; %bb.9:
	ds_load_2addr_b32 v[7:8], v4 offset1:32
	s_wait_dscnt 0x0
	v_add_f32_e32 v1, v7, v8
.LBB7_10:
	s_cmp_gt_u32 s13, 16
	s_mov_b32 s15, 16
	s_cbranch_scc1 .LBB7_13
; %bb.11:
	v_mbcnt_lo_u32_b32 v7, -1, 0
	s_delay_alu instid0(VALU_DEP_1)
	v_sub_nc_u32_e32 v8, 32, v7
.LBB7_12:                               ; =>This Inner Loop Header: Depth=1
	s_wait_alu 0xfffe
	s_delay_alu instid0(VALU_DEP_1)
	v_cmp_lt_u32_e32 vcc_lo, s15, v8
	s_wait_alu 0xfffd
	v_cndmask_b32_e64 v9, 0, s15, vcc_lo
	s_lshr_b32 s15, s15, 1
	s_wait_alu 0xfffe
	s_cmp_lt_u32 s15, s13
	s_delay_alu instid0(VALU_DEP_1)
	v_add_lshl_u32 v9, v9, v7, 2
	ds_bpermute_b32 v9, v9, v1
	s_wait_dscnt 0x0
	v_add_f32_e32 v1, v1, v9
	s_cbranch_scc0 .LBB7_12
.LBB7_13:
	v_cmp_gt_u32_e32 vcc_lo, s13, v5
	s_and_b32 exec_lo, exec_lo, vcc_lo
; %bb.14:
	ds_store_b32 v4, v1
.LBB7_15:
	s_wait_alu 0xfffe
	s_or_b32 exec_lo, exec_lo, s14
	v_ashrrev_i32_e32 v4, 31, v3
	s_mov_b32 s13, exec_lo
	s_lshl_b32 s0, s0, 2
	s_wait_loadcnt_dscnt 0x0
	s_barrier_signal -1
	s_barrier_wait -1
	global_inv scope:SCOPE_SE
	v_cmpx_ne_u32_e32 0, v6
	s_wait_alu 0xfffe
	s_xor_b32 s13, exec_lo, s13
	s_wait_alu 0xfffe
	s_or_saveexec_b32 s14, s13
	s_add_co_i32 s13, s0, 0
	s_wait_alu 0xfffe
	s_xor_b32 exec_lo, exec_lo, s14
	s_cbranch_execz .LBB7_17
; %bb.16:
	v_lshlrev_b32_e32 v1, 2, v2
	s_delay_alu instid0(VALU_DEP_1)
	v_add_nc_u32_e32 v5, 0, v1
	ds_load_b32 v5, v5
	s_wait_dscnt 0x0
	v_mul_f32_e32 v7, 0x4f800000, v5
	v_cmp_gt_f32_e32 vcc_lo, 0xf800000, v5
	s_wait_alu 0xfffd
	s_delay_alu instid0(VALU_DEP_2) | instskip(NEXT) | instid1(VALU_DEP_1)
	v_cndmask_b32_e32 v5, v5, v7, vcc_lo
	v_sqrt_f32_e32 v7, v5
	s_delay_alu instid0(TRANS32_DEP_1) | instskip(SKIP_1) | instid1(VALU_DEP_2)
	v_add_nc_u32_e32 v8, -1, v7
	v_add_nc_u32_e32 v9, 1, v7
	v_fma_f32 v10, -v8, v7, v5
	s_delay_alu instid0(VALU_DEP_2) | instskip(NEXT) | instid1(VALU_DEP_2)
	v_fma_f32 v11, -v9, v7, v5
	v_cmp_ge_f32_e64 s0, 0, v10
	s_wait_alu 0xf1ff
	s_delay_alu instid0(VALU_DEP_1) | instskip(NEXT) | instid1(VALU_DEP_3)
	v_cndmask_b32_e64 v7, v7, v8, s0
	v_cmp_lt_f32_e64 s0, 0, v11
	s_wait_alu 0xf1ff
	s_delay_alu instid0(VALU_DEP_1) | instskip(NEXT) | instid1(VALU_DEP_1)
	v_cndmask_b32_e64 v7, v7, v9, s0
	v_dual_mul_f32 v8, 0x37800000, v7 :: v_dual_add_nc_u32 v1, s13, v1
	s_delay_alu instid0(VALU_DEP_1) | instskip(SKIP_2) | instid1(VALU_DEP_2)
	v_cndmask_b32_e32 v7, v7, v8, vcc_lo
	v_cmp_class_f32_e64 vcc_lo, v5, 0x260
	s_wait_alu 0xfffd
	v_cndmask_b32_e32 v5, v7, v5, vcc_lo
	s_delay_alu instid0(VALU_DEP_1) | instskip(SKIP_1) | instid1(VALU_DEP_2)
	v_div_scale_f32 v7, null, v5, v5, 1.0
	v_div_scale_f32 v10, vcc_lo, 1.0, v5, 1.0
	v_rcp_f32_e32 v9, v7
	s_delay_alu instid0(TRANS32_DEP_1) | instskip(NEXT) | instid1(VALU_DEP_1)
	v_fma_f32 v8, -v7, v9, 1.0
	v_fmac_f32_e32 v9, v8, v9
	s_delay_alu instid0(VALU_DEP_1) | instskip(NEXT) | instid1(VALU_DEP_1)
	v_mul_f32_e32 v11, v10, v9
	v_fma_f32 v8, -v7, v11, v10
	s_delay_alu instid0(VALU_DEP_1) | instskip(NEXT) | instid1(VALU_DEP_1)
	v_fmac_f32_e32 v11, v8, v9
	v_fma_f32 v10, -v7, v11, v10
	v_lshlrev_b64_e32 v[7:8], 2, v[3:4]
	s_wait_alu 0xfffd
	s_delay_alu instid0(VALU_DEP_2) | instskip(NEXT) | instid1(VALU_DEP_2)
	v_div_fmas_f32 v9, v10, v9, v11
	v_add_co_u32 v7, vcc_lo, s6, v7
	s_wait_alu 0xfffd
	s_delay_alu instid0(VALU_DEP_3) | instskip(NEXT) | instid1(VALU_DEP_3)
	v_add_co_ci_u32_e64 v8, null, s7, v8, vcc_lo
	v_div_fixup_f32 v9, v9, v5, 1.0
	global_store_b32 v[7:8], v5, off
	ds_store_b32 v1, v9
.LBB7_17:
	s_or_b32 exec_lo, exec_lo, s14
	s_wait_storecnt 0x0
	s_wait_loadcnt_dscnt 0x0
	s_barrier_signal -1
	s_barrier_wait -1
	global_inv scope:SCOPE_SE
	s_and_saveexec_b32 s0, s12
	s_cbranch_execz .LBB7_20
; %bb.18:
	v_lshlrev_b64_e32 v[3:4], 1, v[3:4]
	v_lshl_add_u32 v2, v2, 2, s13
	s_mov_b32 s6, 0
	ds_load_b32 v2, v2
	v_add_co_u32 v3, vcc_lo, s10, v3
	s_wait_alu 0xfffd
	v_add_co_ci_u32_e64 v4, null, s11, v4, vcc_lo
	global_load_u16 v1, v[3:4], off
	s_wait_loadcnt 0x0
	v_cvt_f32_f16_e32 v3, v1
.LBB7_19:                               ; =>This Inner Loop Header: Depth=1
	v_ashrrev_i32_e32 v1, 31, v0
	s_delay_alu instid0(VALU_DEP_1) | instskip(SKIP_1) | instid1(VALU_DEP_2)
	v_lshlrev_b64_e32 v[4:5], 1, v[0:1]
	v_add_nc_u32_e32 v0, s2, v0
	v_add_co_u32 v7, vcc_lo, s8, v4
	s_wait_alu 0xfffd
	s_delay_alu instid0(VALU_DEP_3)
	v_add_co_ci_u32_e64 v8, null, s9, v5, vcc_lo
	v_add_co_u32 v4, s0, s4, v4
	s_wait_alu 0xf1fe
	v_add_co_ci_u32_e64 v5, null, s5, v5, s0
	global_load_u16 v1, v[7:8], off
	s_wait_loadcnt 0x0
	v_cvt_f32_f16_e32 v1, v1
	s_delay_alu instid0(VALU_DEP_1) | instskip(NEXT) | instid1(VALU_DEP_1)
	v_dual_mul_f32 v1, v3, v1 :: v_dual_add_nc_u32 v6, s1, v6
	v_cmp_le_i32_e32 vcc_lo, s3, v6
	s_wait_dscnt 0x0
	s_delay_alu instid0(VALU_DEP_2)
	v_fma_mixlo_f16 v1, v2, v1, 0
	s_or_b32 s6, vcc_lo, s6
	global_store_b16 v[4:5], v1, off
	s_wait_alu 0xfffe
	s_and_not1_b32 exec_lo, exec_lo, s6
	s_cbranch_execnz .LBB7_19
.LBB7_20:
	s_endpgm
.LBB7_21:                               ;   in Loop: Header=BB7_22 Depth=1
	s_or_b32 exec_lo, exec_lo, s16
	s_lshr_b32 s16, s14, 1
	s_cmp_lt_u32 s14, 0x80
	s_mov_b32 s14, s16
	s_wait_loadcnt_dscnt 0x0
	s_barrier_signal -1
	s_barrier_wait -1
	global_inv scope:SCOPE_SE
	s_cbranch_scc1 .LBB7_7
.LBB7_22:                               ; =>This Inner Loop Header: Depth=1
	s_mov_b32 s16, exec_lo
	s_wait_alu 0xfffe
	v_cmpx_gt_i32_e64 s14, v5
	s_cbranch_execz .LBB7_21
; %bb.23:                               ;   in Loop: Header=BB7_22 Depth=1
	v_lshl_add_u32 v7, s14, 2, v4
	ds_load_b32 v8, v4
	ds_load_b32 v7, v7
	s_wait_dscnt 0x0
	v_add_f32_e32 v7, v8, v7
	ds_store_b32 v4, v7
	s_branch .LBB7_21
	.section	.rodata,"a",@progbits
	.p2align	6, 0x0
	.amdhsa_kernel _ZN2at6native12_GLOBAL__N_131weight_norm_fwd_last_dim_kernelIN3c104HalfEfEEvPT_PT0_PKS5_SA_ii
		.amdhsa_group_segment_fixed_size 0
		.amdhsa_private_segment_fixed_size 0
		.amdhsa_kernarg_size 296
		.amdhsa_user_sgpr_count 2
		.amdhsa_user_sgpr_dispatch_ptr 0
		.amdhsa_user_sgpr_queue_ptr 0
		.amdhsa_user_sgpr_kernarg_segment_ptr 1
		.amdhsa_user_sgpr_dispatch_id 0
		.amdhsa_user_sgpr_private_segment_size 0
		.amdhsa_wavefront_size32 1
		.amdhsa_uses_dynamic_stack 0
		.amdhsa_enable_private_segment 0
		.amdhsa_system_sgpr_workgroup_id_x 1
		.amdhsa_system_sgpr_workgroup_id_y 0
		.amdhsa_system_sgpr_workgroup_id_z 0
		.amdhsa_system_sgpr_workgroup_info 0
		.amdhsa_system_vgpr_workitem_id 1
		.amdhsa_next_free_vgpr 12
		.amdhsa_next_free_sgpr 17
		.amdhsa_reserve_vcc 1
		.amdhsa_float_round_mode_32 0
		.amdhsa_float_round_mode_16_64 0
		.amdhsa_float_denorm_mode_32 3
		.amdhsa_float_denorm_mode_16_64 3
		.amdhsa_fp16_overflow 0
		.amdhsa_workgroup_processor_mode 1
		.amdhsa_memory_ordered 1
		.amdhsa_forward_progress 1
		.amdhsa_inst_pref_size 10
		.amdhsa_round_robin_scheduling 0
		.amdhsa_exception_fp_ieee_invalid_op 0
		.amdhsa_exception_fp_denorm_src 0
		.amdhsa_exception_fp_ieee_div_zero 0
		.amdhsa_exception_fp_ieee_overflow 0
		.amdhsa_exception_fp_ieee_underflow 0
		.amdhsa_exception_fp_ieee_inexact 0
		.amdhsa_exception_int_div_zero 0
	.end_amdhsa_kernel
	.section	.text._ZN2at6native12_GLOBAL__N_131weight_norm_fwd_last_dim_kernelIN3c104HalfEfEEvPT_PT0_PKS5_SA_ii,"axG",@progbits,_ZN2at6native12_GLOBAL__N_131weight_norm_fwd_last_dim_kernelIN3c104HalfEfEEvPT_PT0_PKS5_SA_ii,comdat
.Lfunc_end7:
	.size	_ZN2at6native12_GLOBAL__N_131weight_norm_fwd_last_dim_kernelIN3c104HalfEfEEvPT_PT0_PKS5_SA_ii, .Lfunc_end7-_ZN2at6native12_GLOBAL__N_131weight_norm_fwd_last_dim_kernelIN3c104HalfEfEEvPT_PT0_PKS5_SA_ii
                                        ; -- End function
	.set _ZN2at6native12_GLOBAL__N_131weight_norm_fwd_last_dim_kernelIN3c104HalfEfEEvPT_PT0_PKS5_SA_ii.num_vgpr, 12
	.set _ZN2at6native12_GLOBAL__N_131weight_norm_fwd_last_dim_kernelIN3c104HalfEfEEvPT_PT0_PKS5_SA_ii.num_agpr, 0
	.set _ZN2at6native12_GLOBAL__N_131weight_norm_fwd_last_dim_kernelIN3c104HalfEfEEvPT_PT0_PKS5_SA_ii.numbered_sgpr, 17
	.set _ZN2at6native12_GLOBAL__N_131weight_norm_fwd_last_dim_kernelIN3c104HalfEfEEvPT_PT0_PKS5_SA_ii.num_named_barrier, 0
	.set _ZN2at6native12_GLOBAL__N_131weight_norm_fwd_last_dim_kernelIN3c104HalfEfEEvPT_PT0_PKS5_SA_ii.private_seg_size, 0
	.set _ZN2at6native12_GLOBAL__N_131weight_norm_fwd_last_dim_kernelIN3c104HalfEfEEvPT_PT0_PKS5_SA_ii.uses_vcc, 1
	.set _ZN2at6native12_GLOBAL__N_131weight_norm_fwd_last_dim_kernelIN3c104HalfEfEEvPT_PT0_PKS5_SA_ii.uses_flat_scratch, 0
	.set _ZN2at6native12_GLOBAL__N_131weight_norm_fwd_last_dim_kernelIN3c104HalfEfEEvPT_PT0_PKS5_SA_ii.has_dyn_sized_stack, 0
	.set _ZN2at6native12_GLOBAL__N_131weight_norm_fwd_last_dim_kernelIN3c104HalfEfEEvPT_PT0_PKS5_SA_ii.has_recursion, 0
	.set _ZN2at6native12_GLOBAL__N_131weight_norm_fwd_last_dim_kernelIN3c104HalfEfEEvPT_PT0_PKS5_SA_ii.has_indirect_call, 0
	.section	.AMDGPU.csdata,"",@progbits
; Kernel info:
; codeLenInByte = 1236
; TotalNumSgprs: 19
; NumVgprs: 12
; ScratchSize: 0
; MemoryBound: 0
; FloatMode: 240
; IeeeMode: 1
; LDSByteSize: 0 bytes/workgroup (compile time only)
; SGPRBlocks: 0
; VGPRBlocks: 1
; NumSGPRsForWavesPerEU: 19
; NumVGPRsForWavesPerEU: 12
; Occupancy: 16
; WaveLimiterHint : 0
; COMPUTE_PGM_RSRC2:SCRATCH_EN: 0
; COMPUTE_PGM_RSRC2:USER_SGPR: 2
; COMPUTE_PGM_RSRC2:TRAP_HANDLER: 0
; COMPUTE_PGM_RSRC2:TGID_X_EN: 1
; COMPUTE_PGM_RSRC2:TGID_Y_EN: 0
; COMPUTE_PGM_RSRC2:TGID_Z_EN: 0
; COMPUTE_PGM_RSRC2:TIDIG_COMP_CNT: 1
	.section	.text._ZN2at6native12_GLOBAL__N_132weight_norm_bwd_first_dim_kernelIddEEvPT_S4_PKS3_S6_S6_PKT0_i,"axG",@progbits,_ZN2at6native12_GLOBAL__N_132weight_norm_bwd_first_dim_kernelIddEEvPT_S4_PKS3_S6_S6_PKT0_i,comdat
	.globl	_ZN2at6native12_GLOBAL__N_132weight_norm_bwd_first_dim_kernelIddEEvPT_S4_PKS3_S6_S6_PKT0_i ; -- Begin function _ZN2at6native12_GLOBAL__N_132weight_norm_bwd_first_dim_kernelIddEEvPT_S4_PKS3_S6_S6_PKT0_i
	.p2align	8
	.type	_ZN2at6native12_GLOBAL__N_132weight_norm_bwd_first_dim_kernelIddEEvPT_S4_PKS3_S6_S6_PKT0_i,@function
_ZN2at6native12_GLOBAL__N_132weight_norm_bwd_first_dim_kernelIddEEvPT_S4_PKS3_S6_S6_PKT0_i: ; @_ZN2at6native12_GLOBAL__N_132weight_norm_bwd_first_dim_kernelIddEEvPT_S4_PKS3_S6_S6_PKT0_i
; %bb.0:
	s_clause 0x3
	s_load_b32 s16, s[0:1], 0x30
	s_load_b32 s3, s[0:1], 0x44
	s_load_b64 s[12:13], s[0:1], 0x0
	s_load_b128 s[4:7], s[0:1], 0x10
	v_and_b32_e32 v9, 0x3ff, v0
	v_mov_b32_e32 v3, 0
	v_mov_b32_e32 v4, 0
	s_wait_kmcnt 0x0
	s_mul_i32 s2, s16, ttmp9
	s_and_b32 s17, s3, 0xffff
	v_add_nc_u32_e32 v1, s2, v9
	v_cmp_gt_i32_e64 s2, s16, v9
	s_delay_alu instid0(VALU_DEP_2)
	v_ashrrev_i32_e32 v2, 31, v1
	s_and_saveexec_b32 s8, s2
	s_cbranch_execz .LBB8_4
; %bb.1:
	s_delay_alu instid0(VALU_DEP_1)
	v_lshlrev_b64_e32 v[5:6], 3, v[1:2]
	v_mov_b32_e32 v3, 0
	v_dual_mov_b32 v4, 0 :: v_dual_mov_b32 v7, v9
	s_lshl_b32 s10, s17, 3
	s_mov_b32 s9, 0
.LBB8_2:                                ; =>This Inner Loop Header: Depth=1
	s_delay_alu instid0(VALU_DEP_3)
	v_add_co_u32 v10, vcc_lo, s4, v5
	s_wait_alu 0xfffd
	v_add_co_ci_u32_e64 v11, null, s5, v6, vcc_lo
	v_add_co_u32 v12, vcc_lo, s6, v5
	s_wait_alu 0xfffd
	v_add_co_ci_u32_e64 v13, null, s7, v6, vcc_lo
	global_load_b64 v[10:11], v[10:11], off
	global_load_b64 v[12:13], v[12:13], off
	v_add_nc_u32_e32 v7, s17, v7
	v_add_co_u32 v5, s3, v5, s10
	s_wait_alu 0xf1ff
	v_add_co_ci_u32_e64 v6, null, 0, v6, s3
	s_delay_alu instid0(VALU_DEP_3)
	v_cmp_le_i32_e32 vcc_lo, s16, v7
	s_or_b32 s9, vcc_lo, s9
	s_wait_loadcnt 0x0
	v_fma_f64 v[3:4], v[10:11], v[12:13], v[3:4]
	s_and_not1_b32 exec_lo, exec_lo, s9
	s_cbranch_execnz .LBB8_2
; %bb.3:
	s_or_b32 exec_lo, exec_lo, s9
.LBB8_4:
	s_delay_alu instid0(SALU_CYCLE_1)
	s_or_b32 exec_lo, exec_lo, s8
	s_clause 0x1
	s_load_b64 s[14:15], s[0:1], 0x8
	s_load_b128 s[8:11], s[0:1], 0x20
	s_add_nc_u64 s[0:1], s[0:1], 56
	v_bfe_u32 v0, v0, 10, 10
	s_load_u16 s0, s[0:1], 0xe
	s_delay_alu instid0(VALU_DEP_1) | instskip(SKIP_2) | instid1(SALU_CYCLE_1)
	v_mad_u32_u24 v0, v0, s17, v9
	s_wait_kmcnt 0x0
	s_mul_i32 s0, s0, s17
	s_cmp_gt_i32 s0, 63
	s_cselect_b32 s1, -1, 0
	s_cmp_lt_i32 s0, 64
	s_cbranch_scc1 .LBB8_6
; %bb.5:
	v_lshl_add_u32 v5, v0, 3, 0
	ds_store_b64 v5, v[3:4]
	s_wait_dscnt 0x0
	s_barrier_signal -1
	s_barrier_wait -1
	global_inv scope:SCOPE_SE
.LBB8_6:
	s_ashr_i32 s0, s0, 1
	s_delay_alu instid0(SALU_CYCLE_1)
	s_cmp_lt_i32 s0, 64
	s_cbranch_scc1 .LBB8_11
; %bb.7:
	v_lshl_add_u32 v5, v0, 3, 0
	s_branch .LBB8_9
.LBB8_8:                                ;   in Loop: Header=BB8_9 Depth=1
	s_wait_alu 0xfffe
	s_or_b32 exec_lo, exec_lo, s3
	s_lshr_b32 s3, s0, 1
	s_cmp_lt_u32 s0, 0x80
	s_wait_alu 0xfffe
	s_mov_b32 s0, s3
	s_wait_loadcnt_dscnt 0x0
	s_barrier_signal -1
	s_barrier_wait -1
	global_inv scope:SCOPE_SE
	s_cbranch_scc1 .LBB8_11
.LBB8_9:                                ; =>This Inner Loop Header: Depth=1
	s_mov_b32 s3, exec_lo
	s_wait_alu 0xfffe
	v_cmpx_gt_i32_e64 s0, v0
	s_cbranch_execz .LBB8_8
; %bb.10:                               ;   in Loop: Header=BB8_9 Depth=1
	v_lshl_add_u32 v8, s0, 3, v5
	ds_load_b64 v[6:7], v5
	ds_load_b64 v[10:11], v8
	s_wait_dscnt 0x0
	v_add_f64_e32 v[6:7], v[6:7], v[10:11]
	ds_store_b64 v5, v[6:7]
	s_branch .LBB8_8
.LBB8_11:
	s_mov_b32 s0, exec_lo
	v_cmpx_gt_u32_e32 32, v0
	s_cbranch_execz .LBB8_16
; %bb.12:
	s_and_not1_b32 vcc_lo, exec_lo, s1
	s_wait_alu 0xfffe
	s_cbranch_vccnz .LBB8_14
; %bb.13:
	v_lshl_add_u32 v3, v0, 3, 0
	ds_load_2addr_b64 v[3:6], v3 offset1:32
	s_wait_dscnt 0x0
	v_add_f64_e32 v[3:4], v[3:4], v[5:6]
.LBB8_14:
	v_mbcnt_lo_u32_b32 v7, -1, 0
	s_delay_alu instid0(VALU_DEP_1)
	v_lshl_or_b32 v6, v7, 2, 64
	v_cmp_gt_u32_e32 vcc_lo, 24, v7
	ds_bpermute_b32 v5, v6, v3
	ds_bpermute_b32 v6, v6, v4
	s_wait_dscnt 0x0
	v_add_f64_e32 v[3:4], v[3:4], v[5:6]
	s_wait_alu 0xfffd
	v_cndmask_b32_e64 v5, 0, 8, vcc_lo
	v_cmp_gt_u32_e32 vcc_lo, 28, v7
	s_delay_alu instid0(VALU_DEP_2)
	v_add_lshl_u32 v6, v5, v7, 2
	ds_bpermute_b32 v5, v6, v3
	ds_bpermute_b32 v6, v6, v4
	s_wait_dscnt 0x0
	v_add_f64_e32 v[3:4], v[3:4], v[5:6]
	s_wait_alu 0xfffd
	v_cndmask_b32_e64 v5, 0, 4, vcc_lo
	v_cmp_gt_u32_e32 vcc_lo, 30, v7
	s_delay_alu instid0(VALU_DEP_2)
	v_add_lshl_u32 v6, v5, v7, 2
	ds_bpermute_b32 v5, v6, v3
	ds_bpermute_b32 v6, v6, v4
	s_wait_dscnt 0x0
	v_add_f64_e32 v[3:4], v[3:4], v[5:6]
	s_wait_alu 0xfffd
	v_cndmask_b32_e64 v5, 0, 2, vcc_lo
	v_cmp_ne_u32_e32 vcc_lo, 31, v7
	s_delay_alu instid0(VALU_DEP_2)
	v_add_lshl_u32 v6, v5, v7, 2
	ds_bpermute_b32 v5, v6, v3
	ds_bpermute_b32 v6, v6, v4
	s_wait_dscnt 0x0
	v_add_f64_e32 v[3:4], v[3:4], v[5:6]
	s_wait_alu 0xfffd
	v_add_co_ci_u32_e64 v5, null, 0, v7, vcc_lo
	v_cmp_eq_u32_e32 vcc_lo, 0, v0
	s_delay_alu instid0(VALU_DEP_2)
	v_lshlrev_b32_e32 v6, 2, v5
	ds_bpermute_b32 v5, v6, v3
	ds_bpermute_b32 v6, v6, v4
	s_and_b32 exec_lo, exec_lo, vcc_lo
	s_cbranch_execz .LBB8_16
; %bb.15:
	s_wait_dscnt 0x0
	v_add_f64_e32 v[3:4], v[3:4], v[5:6]
	v_mov_b32_e32 v0, 0
	ds_store_b64 v0, v[3:4]
.LBB8_16:
	s_wait_alu 0xfffe
	s_or_b32 exec_lo, exec_lo, s0
	s_mov_b32 s0, ttmp9
	s_wait_alu 0xfffe
	s_ashr_i32 s1, ttmp9, 31
	s_wait_loadcnt_dscnt 0x0
	s_wait_alu 0xfffe
	s_lshl_b64 s[0:1], s[0:1], 3
	s_barrier_signal -1
	s_wait_alu 0xfffe
	s_add_nc_u64 s[10:11], s[10:11], s[0:1]
	s_barrier_wait -1
	global_inv scope:SCOPE_SE
	s_load_b64 s[10:11], s[10:11], 0x0
	v_mov_b32_e32 v0, 0
	s_mov_b32 s3, exec_lo
	s_wait_kmcnt 0x0
	v_div_scale_f64 v[3:4], null, s[10:11], s[10:11], 1.0
	s_delay_alu instid0(VALU_DEP_1) | instskip(NEXT) | instid1(TRANS32_DEP_1)
	v_rcp_f64_e32 v[5:6], v[3:4]
	v_fma_f64 v[7:8], -v[3:4], v[5:6], 1.0
	s_delay_alu instid0(VALU_DEP_1) | instskip(NEXT) | instid1(VALU_DEP_1)
	v_fma_f64 v[5:6], v[5:6], v[7:8], v[5:6]
	v_fma_f64 v[7:8], -v[3:4], v[5:6], 1.0
	s_delay_alu instid0(VALU_DEP_1) | instskip(SKIP_1) | instid1(VALU_DEP_1)
	v_fma_f64 v[5:6], v[5:6], v[7:8], v[5:6]
	v_div_scale_f64 v[7:8], vcc_lo, 1.0, s[10:11], 1.0
	v_mul_f64_e32 v[10:11], v[7:8], v[5:6]
	s_delay_alu instid0(VALU_DEP_1) | instskip(SKIP_1) | instid1(VALU_DEP_1)
	v_fma_f64 v[3:4], -v[3:4], v[10:11], v[7:8]
	s_wait_alu 0xfffd
	v_div_fmas_f64 v[3:4], v[3:4], v[5:6], v[10:11]
	ds_load_b64 v[5:6], v0
	v_div_fixup_f64 v[3:4], v[3:4], s[10:11], 1.0
	v_cmpx_eq_u32_e32 0, v9
	s_cbranch_execz .LBB8_18
; %bb.17:
	s_wait_dscnt 0x0
	s_delay_alu instid0(VALU_DEP_2)
	v_mul_f64_e32 v[7:8], v[5:6], v[3:4]
	s_add_nc_u64 s[10:11], s[14:15], s[0:1]
	global_store_b64 v0, v[7:8], s[10:11]
.LBB8_18:
	s_wait_alu 0xfffe
	s_or_b32 exec_lo, exec_lo, s3
	s_and_saveexec_b32 s3, s2
	s_cbranch_execz .LBB8_21
; %bb.19:
	s_delay_alu instid0(VALU_DEP_2)
	v_mul_f64_e32 v[7:8], v[3:4], v[3:4]
	s_add_nc_u64 s[0:1], s[8:9], s[0:1]
	v_lshlrev_b64_e32 v[0:1], 3, v[1:2]
	s_load_b64 s[2:3], s[0:1], 0x0
	s_lshl_b32 s1, s17, 3
	s_mov_b32 s8, 0
	s_delay_alu instid0(VALU_DEP_2)
	v_mul_f64_e32 v[7:8], v[3:4], v[7:8]
.LBB8_20:                               ; =>This Inner Loop Header: Depth=1
	s_delay_alu instid0(VALU_DEP_2)
	v_add_co_u32 v10, vcc_lo, s6, v0
	s_wait_alu 0xfffd
	v_add_co_ci_u32_e64 v11, null, s7, v1, vcc_lo
	v_add_co_u32 v12, vcc_lo, s4, v0
	s_wait_alu 0xfffd
	v_add_co_ci_u32_e64 v13, null, s5, v1, vcc_lo
	global_load_b64 v[10:11], v[10:11], off
	v_add_nc_u32_e32 v9, s17, v9
	global_load_b64 v[12:13], v[12:13], off
	s_wait_loadcnt 0x1
	v_mul_f64_e32 v[10:11], v[7:8], v[10:11]
	s_wait_dscnt 0x0
	s_delay_alu instid0(VALU_DEP_1) | instskip(SKIP_1) | instid1(VALU_DEP_1)
	v_mul_f64_e32 v[10:11], v[5:6], v[10:11]
	s_wait_loadcnt 0x0
	v_fma_f64 v[10:11], v[3:4], v[12:13], -v[10:11]
	v_add_co_u32 v12, vcc_lo, s12, v0
	s_wait_alu 0xfffd
	v_add_co_ci_u32_e64 v13, null, s13, v1, vcc_lo
	v_cmp_le_i32_e32 vcc_lo, s16, v9
	s_wait_alu 0xfffe
	v_add_co_u32 v0, s0, v0, s1
	s_wait_alu 0xf1ff
	v_add_co_ci_u32_e64 v1, null, 0, v1, s0
	s_or_b32 s8, vcc_lo, s8
	s_wait_kmcnt 0x0
	v_mul_f64_e32 v[10:11], s[2:3], v[10:11]
	global_store_b64 v[12:13], v[10:11], off
	s_and_not1_b32 exec_lo, exec_lo, s8
	s_cbranch_execnz .LBB8_20
.LBB8_21:
	s_endpgm
	.section	.rodata,"a",@progbits
	.p2align	6, 0x0
	.amdhsa_kernel _ZN2at6native12_GLOBAL__N_132weight_norm_bwd_first_dim_kernelIddEEvPT_S4_PKS3_S6_S6_PKT0_i
		.amdhsa_group_segment_fixed_size 0
		.amdhsa_private_segment_fixed_size 0
		.amdhsa_kernarg_size 312
		.amdhsa_user_sgpr_count 2
		.amdhsa_user_sgpr_dispatch_ptr 0
		.amdhsa_user_sgpr_queue_ptr 0
		.amdhsa_user_sgpr_kernarg_segment_ptr 1
		.amdhsa_user_sgpr_dispatch_id 0
		.amdhsa_user_sgpr_private_segment_size 0
		.amdhsa_wavefront_size32 1
		.amdhsa_uses_dynamic_stack 0
		.amdhsa_enable_private_segment 0
		.amdhsa_system_sgpr_workgroup_id_x 1
		.amdhsa_system_sgpr_workgroup_id_y 0
		.amdhsa_system_sgpr_workgroup_id_z 0
		.amdhsa_system_sgpr_workgroup_info 0
		.amdhsa_system_vgpr_workitem_id 1
		.amdhsa_next_free_vgpr 14
		.amdhsa_next_free_sgpr 18
		.amdhsa_reserve_vcc 1
		.amdhsa_float_round_mode_32 0
		.amdhsa_float_round_mode_16_64 0
		.amdhsa_float_denorm_mode_32 3
		.amdhsa_float_denorm_mode_16_64 3
		.amdhsa_fp16_overflow 0
		.amdhsa_workgroup_processor_mode 1
		.amdhsa_memory_ordered 1
		.amdhsa_forward_progress 1
		.amdhsa_inst_pref_size 11
		.amdhsa_round_robin_scheduling 0
		.amdhsa_exception_fp_ieee_invalid_op 0
		.amdhsa_exception_fp_denorm_src 0
		.amdhsa_exception_fp_ieee_div_zero 0
		.amdhsa_exception_fp_ieee_overflow 0
		.amdhsa_exception_fp_ieee_underflow 0
		.amdhsa_exception_fp_ieee_inexact 0
		.amdhsa_exception_int_div_zero 0
	.end_amdhsa_kernel
	.section	.text._ZN2at6native12_GLOBAL__N_132weight_norm_bwd_first_dim_kernelIddEEvPT_S4_PKS3_S6_S6_PKT0_i,"axG",@progbits,_ZN2at6native12_GLOBAL__N_132weight_norm_bwd_first_dim_kernelIddEEvPT_S4_PKS3_S6_S6_PKT0_i,comdat
.Lfunc_end8:
	.size	_ZN2at6native12_GLOBAL__N_132weight_norm_bwd_first_dim_kernelIddEEvPT_S4_PKS3_S6_S6_PKT0_i, .Lfunc_end8-_ZN2at6native12_GLOBAL__N_132weight_norm_bwd_first_dim_kernelIddEEvPT_S4_PKS3_S6_S6_PKT0_i
                                        ; -- End function
	.set _ZN2at6native12_GLOBAL__N_132weight_norm_bwd_first_dim_kernelIddEEvPT_S4_PKS3_S6_S6_PKT0_i.num_vgpr, 14
	.set _ZN2at6native12_GLOBAL__N_132weight_norm_bwd_first_dim_kernelIddEEvPT_S4_PKS3_S6_S6_PKT0_i.num_agpr, 0
	.set _ZN2at6native12_GLOBAL__N_132weight_norm_bwd_first_dim_kernelIddEEvPT_S4_PKS3_S6_S6_PKT0_i.numbered_sgpr, 18
	.set _ZN2at6native12_GLOBAL__N_132weight_norm_bwd_first_dim_kernelIddEEvPT_S4_PKS3_S6_S6_PKT0_i.num_named_barrier, 0
	.set _ZN2at6native12_GLOBAL__N_132weight_norm_bwd_first_dim_kernelIddEEvPT_S4_PKS3_S6_S6_PKT0_i.private_seg_size, 0
	.set _ZN2at6native12_GLOBAL__N_132weight_norm_bwd_first_dim_kernelIddEEvPT_S4_PKS3_S6_S6_PKT0_i.uses_vcc, 1
	.set _ZN2at6native12_GLOBAL__N_132weight_norm_bwd_first_dim_kernelIddEEvPT_S4_PKS3_S6_S6_PKT0_i.uses_flat_scratch, 0
	.set _ZN2at6native12_GLOBAL__N_132weight_norm_bwd_first_dim_kernelIddEEvPT_S4_PKS3_S6_S6_PKT0_i.has_dyn_sized_stack, 0
	.set _ZN2at6native12_GLOBAL__N_132weight_norm_bwd_first_dim_kernelIddEEvPT_S4_PKS3_S6_S6_PKT0_i.has_recursion, 0
	.set _ZN2at6native12_GLOBAL__N_132weight_norm_bwd_first_dim_kernelIddEEvPT_S4_PKS3_S6_S6_PKT0_i.has_indirect_call, 0
	.section	.AMDGPU.csdata,"",@progbits
; Kernel info:
; codeLenInByte = 1312
; TotalNumSgprs: 20
; NumVgprs: 14
; ScratchSize: 0
; MemoryBound: 0
; FloatMode: 240
; IeeeMode: 1
; LDSByteSize: 0 bytes/workgroup (compile time only)
; SGPRBlocks: 0
; VGPRBlocks: 1
; NumSGPRsForWavesPerEU: 20
; NumVGPRsForWavesPerEU: 14
; Occupancy: 16
; WaveLimiterHint : 0
; COMPUTE_PGM_RSRC2:SCRATCH_EN: 0
; COMPUTE_PGM_RSRC2:USER_SGPR: 2
; COMPUTE_PGM_RSRC2:TRAP_HANDLER: 0
; COMPUTE_PGM_RSRC2:TGID_X_EN: 1
; COMPUTE_PGM_RSRC2:TGID_Y_EN: 0
; COMPUTE_PGM_RSRC2:TGID_Z_EN: 0
; COMPUTE_PGM_RSRC2:TIDIG_COMP_CNT: 1
	.section	.text._ZN2at6native12_GLOBAL__N_132weight_norm_bwd_first_dim_kernelIffEEvPT_S4_PKS3_S6_S6_PKT0_i,"axG",@progbits,_ZN2at6native12_GLOBAL__N_132weight_norm_bwd_first_dim_kernelIffEEvPT_S4_PKS3_S6_S6_PKT0_i,comdat
	.globl	_ZN2at6native12_GLOBAL__N_132weight_norm_bwd_first_dim_kernelIffEEvPT_S4_PKS3_S6_S6_PKT0_i ; -- Begin function _ZN2at6native12_GLOBAL__N_132weight_norm_bwd_first_dim_kernelIffEEvPT_S4_PKS3_S6_S6_PKT0_i
	.p2align	8
	.type	_ZN2at6native12_GLOBAL__N_132weight_norm_bwd_first_dim_kernelIffEEvPT_S4_PKS3_S6_S6_PKT0_i,@function
_ZN2at6native12_GLOBAL__N_132weight_norm_bwd_first_dim_kernelIffEEvPT_S4_PKS3_S6_S6_PKT0_i: ; @_ZN2at6native12_GLOBAL__N_132weight_norm_bwd_first_dim_kernelIffEEvPT_S4_PKS3_S6_S6_PKT0_i
; %bb.0:
	s_clause 0x3
	s_load_b32 s16, s[0:1], 0x30
	s_load_b32 s3, s[0:1], 0x44
	s_load_b64 s[12:13], s[0:1], 0x0
	s_load_b128 s[4:7], s[0:1], 0x10
	v_dual_mov_b32 v6, 0 :: v_dual_and_b32 v5, 0x3ff, v0
	s_wait_kmcnt 0x0
	s_mul_i32 s2, s16, ttmp9
	s_and_b32 s17, s3, 0xffff
	s_delay_alu instid0(VALU_DEP_1) | instskip(SKIP_1) | instid1(VALU_DEP_2)
	v_add_nc_u32_e32 v1, s2, v5
	v_cmp_gt_i32_e64 s2, s16, v5
	v_ashrrev_i32_e32 v2, 31, v1
	s_and_saveexec_b32 s8, s2
	s_cbranch_execz .LBB9_4
; %bb.1:
	s_delay_alu instid0(VALU_DEP_1)
	v_lshlrev_b64_e32 v[3:4], 2, v[1:2]
	v_dual_mov_b32 v6, 0 :: v_dual_mov_b32 v7, v5
	s_lshl_b32 s10, s17, 2
	s_mov_b32 s9, 0
.LBB9_2:                                ; =>This Inner Loop Header: Depth=1
	s_delay_alu instid0(VALU_DEP_2)
	v_add_co_u32 v8, vcc_lo, s4, v3
	s_wait_alu 0xfffd
	v_add_co_ci_u32_e64 v9, null, s5, v4, vcc_lo
	v_add_co_u32 v10, vcc_lo, s6, v3
	s_wait_alu 0xfffd
	v_add_co_ci_u32_e64 v11, null, s7, v4, vcc_lo
	global_load_b32 v8, v[8:9], off
	global_load_b32 v9, v[10:11], off
	v_add_nc_u32_e32 v7, s17, v7
	v_add_co_u32 v3, vcc_lo, v3, s10
	s_wait_alu 0xfffd
	v_add_co_ci_u32_e64 v4, null, 0, v4, vcc_lo
	s_wait_loadcnt 0x0
	v_fmac_f32_e32 v6, v8, v9
	v_cmp_le_i32_e64 s3, s16, v7
	s_or_b32 s9, s3, s9
	s_delay_alu instid0(SALU_CYCLE_1)
	s_and_not1_b32 exec_lo, exec_lo, s9
	s_cbranch_execnz .LBB9_2
; %bb.3:
	s_or_b32 exec_lo, exec_lo, s9
.LBB9_4:
	s_delay_alu instid0(SALU_CYCLE_1)
	s_or_b32 exec_lo, exec_lo, s8
	s_clause 0x1
	s_load_b64 s[14:15], s[0:1], 0x8
	s_load_b128 s[8:11], s[0:1], 0x20
	s_add_nc_u64 s[0:1], s[0:1], 56
	v_bfe_u32 v0, v0, 10, 10
	s_load_u16 s0, s[0:1], 0xe
	s_delay_alu instid0(VALU_DEP_1) | instskip(SKIP_2) | instid1(SALU_CYCLE_1)
	v_mad_u32_u24 v0, v0, s17, v5
	s_wait_kmcnt 0x0
	s_mul_i32 s0, s0, s17
	s_cmp_gt_i32 s0, 63
	s_cselect_b32 s1, -1, 0
	s_cmp_lt_i32 s0, 64
	s_cbranch_scc1 .LBB9_6
; %bb.5:
	v_lshl_add_u32 v3, v0, 2, 0
	ds_store_b32 v3, v6
	s_wait_dscnt 0x0
	s_barrier_signal -1
	s_barrier_wait -1
	global_inv scope:SCOPE_SE
.LBB9_6:
	s_ashr_i32 s0, s0, 1
	s_delay_alu instid0(SALU_CYCLE_1)
	s_cmp_lt_i32 s0, 64
	s_cbranch_scc1 .LBB9_11
; %bb.7:
	v_lshl_add_u32 v3, v0, 2, 0
	s_branch .LBB9_9
.LBB9_8:                                ;   in Loop: Header=BB9_9 Depth=1
	s_wait_alu 0xfffe
	s_or_b32 exec_lo, exec_lo, s3
	s_lshr_b32 s3, s0, 1
	s_cmp_lt_u32 s0, 0x80
	s_wait_alu 0xfffe
	s_mov_b32 s0, s3
	s_wait_loadcnt_dscnt 0x0
	s_barrier_signal -1
	s_barrier_wait -1
	global_inv scope:SCOPE_SE
	s_cbranch_scc1 .LBB9_11
.LBB9_9:                                ; =>This Inner Loop Header: Depth=1
	s_mov_b32 s3, exec_lo
	s_wait_alu 0xfffe
	v_cmpx_gt_i32_e64 s0, v0
	s_cbranch_execz .LBB9_8
; %bb.10:                               ;   in Loop: Header=BB9_9 Depth=1
	v_lshl_add_u32 v4, s0, 2, v3
	ds_load_b32 v7, v3
	ds_load_b32 v4, v4
	s_wait_dscnt 0x0
	v_add_f32_e32 v4, v7, v4
	ds_store_b32 v3, v4
	s_branch .LBB9_8
.LBB9_11:
	s_mov_b32 s0, exec_lo
	v_cmpx_gt_u32_e32 32, v0
	s_cbranch_execz .LBB9_16
; %bb.12:
	s_and_not1_b32 vcc_lo, exec_lo, s1
	s_wait_alu 0xfffe
	s_cbranch_vccnz .LBB9_14
; %bb.13:
	v_lshl_add_u32 v3, v0, 2, 0
	ds_load_2addr_b32 v[3:4], v3 offset1:32
	s_wait_dscnt 0x0
	v_add_f32_e32 v6, v3, v4
.LBB9_14:
	v_mbcnt_lo_u32_b32 v3, -1, 0
	s_delay_alu instid0(VALU_DEP_1)
	v_lshl_or_b32 v4, v3, 2, 64
	v_cmp_gt_u32_e32 vcc_lo, 24, v3
	ds_bpermute_b32 v4, v4, v6
	s_wait_alu 0xfffd
	v_cndmask_b32_e64 v7, 0, 8, vcc_lo
	v_cmp_gt_u32_e32 vcc_lo, 28, v3
	s_delay_alu instid0(VALU_DEP_2)
	v_add_lshl_u32 v7, v7, v3, 2
	s_wait_dscnt 0x0
	v_add_f32_e32 v4, v6, v4
	ds_bpermute_b32 v6, v7, v4
	s_wait_alu 0xfffd
	v_cndmask_b32_e64 v7, 0, 4, vcc_lo
	v_cmp_gt_u32_e32 vcc_lo, 30, v3
	s_delay_alu instid0(VALU_DEP_2)
	v_add_lshl_u32 v7, v7, v3, 2
	s_wait_dscnt 0x0
	v_add_f32_e32 v4, v4, v6
	ds_bpermute_b32 v6, v7, v4
	s_wait_alu 0xfffd
	v_cndmask_b32_e64 v7, 0, 2, vcc_lo
	v_cmp_ne_u32_e32 vcc_lo, 31, v3
	s_delay_alu instid0(VALU_DEP_2)
	v_add_lshl_u32 v7, v7, v3, 2
	s_wait_dscnt 0x0
	v_add_f32_e32 v4, v4, v6
	ds_bpermute_b32 v6, v7, v4
	s_wait_alu 0xfffd
	v_add_co_ci_u32_e64 v7, null, 0, v3, vcc_lo
	v_cmp_eq_u32_e32 vcc_lo, 0, v0
	s_wait_dscnt 0x0
	s_delay_alu instid0(VALU_DEP_2)
	v_dual_add_f32 v3, v4, v6 :: v_dual_lshlrev_b32 v4, 2, v7
	ds_bpermute_b32 v4, v4, v3
	s_and_b32 exec_lo, exec_lo, vcc_lo
	s_cbranch_execz .LBB9_16
; %bb.15:
	s_wait_dscnt 0x0
	v_dual_add_f32 v0, v3, v4 :: v_dual_mov_b32 v3, 0
	ds_store_b32 v3, v0
.LBB9_16:
	s_wait_alu 0xfffe
	s_or_b32 exec_lo, exec_lo, s0
	s_mov_b32 s0, ttmp9
	s_wait_alu 0xfffe
	s_ashr_i32 s1, ttmp9, 31
	s_wait_loadcnt_dscnt 0x0
	s_wait_alu 0xfffe
	s_lshl_b64 s[0:1], s[0:1], 2
	s_barrier_signal -1
	s_wait_alu 0xfffe
	s_add_nc_u64 s[10:11], s[10:11], s[0:1]
	s_barrier_wait -1
	global_inv scope:SCOPE_SE
	s_load_b32 s3, s[10:11], 0x0
	s_wait_kmcnt 0x0
	v_div_scale_f32 v0, null, s3, s3, 1.0
	v_div_scale_f32 v7, vcc_lo, 1.0, s3, 1.0
	s_delay_alu instid0(VALU_DEP_2)
	v_rcp_f32_e32 v4, v0
	v_xor_b32_e32 v6, 0x80000000, v0
	s_delay_alu instid0(TRANS32_DEP_1) | instid1(VALU_DEP_1)
	v_fma_f32 v0, v6, v4, 1.0
	s_delay_alu instid0(VALU_DEP_1) | instskip(NEXT) | instid1(VALU_DEP_1)
	v_fmac_f32_e32 v4, v0, v4
	v_mul_f32_e32 v8, v7, v4
	s_delay_alu instid0(VALU_DEP_1) | instskip(NEXT) | instid1(VALU_DEP_1)
	v_fma_f32 v3, v6, v8, v7
	v_fmac_f32_e32 v8, v3, v4
	s_delay_alu instid0(VALU_DEP_1) | instskip(SKIP_3) | instid1(VALU_DEP_1)
	v_dual_mov_b32 v0, 0 :: v_dual_fmac_f32 v7, v6, v8
	ds_load_b32 v3, v0
	s_wait_alu 0xfffd
	v_div_fmas_f32 v4, v7, v4, v8
	v_div_fixup_f32 v4, v4, s3, 1.0
	s_mov_b32 s3, exec_lo
	v_cmpx_eq_u32_e32 0, v5
	s_cbranch_execz .LBB9_18
; %bb.17:
	s_wait_dscnt 0x0
	v_mul_f32_e32 v6, v3, v4
	s_add_nc_u64 s[10:11], s[14:15], s[0:1]
	global_store_b32 v0, v6, s[10:11]
.LBB9_18:
	s_wait_alu 0xfffe
	s_or_b32 exec_lo, exec_lo, s3
	s_and_saveexec_b32 s3, s2
	s_cbranch_execz .LBB9_21
; %bb.19:
	s_add_nc_u64 s[0:1], s[8:9], s[0:1]
	v_mul_f32_e32 v6, v4, v4
	s_load_b32 s1, s[0:1], 0x0
	v_lshlrev_b64_e32 v[0:1], 2, v[1:2]
	s_lshl_b32 s2, s17, 2
	s_mov_b32 s3, 0
	v_mul_f32_e32 v2, v4, v6
.LBB9_20:                               ; =>This Inner Loop Header: Depth=1
	s_delay_alu instid0(VALU_DEP_2)
	v_add_co_u32 v6, vcc_lo, s6, v0
	s_wait_alu 0xfffd
	v_add_co_ci_u32_e64 v7, null, s7, v1, vcc_lo
	v_add_nc_u32_e32 v5, s17, v5
	global_load_b32 v8, v[6:7], off
	v_add_co_u32 v6, vcc_lo, s4, v0
	s_wait_alu 0xfffd
	v_add_co_ci_u32_e64 v7, null, s5, v1, vcc_lo
	v_cmp_le_i32_e64 s0, s16, v5
	global_load_b32 v9, v[6:7], off
	v_add_co_u32 v6, vcc_lo, s12, v0
	s_wait_alu 0xfffe
	s_or_b32 s3, s0, s3
	s_wait_loadcnt 0x1
	v_mul_f32_e32 v7, v2, v8
	s_wait_dscnt 0x0
	s_delay_alu instid0(VALU_DEP_1)
	v_mul_f32_e32 v8, v3, v7
	s_wait_alu 0xfffd
	v_add_co_ci_u32_e64 v7, null, s13, v1, vcc_lo
	v_add_co_u32 v0, vcc_lo, v0, s2
	s_wait_loadcnt 0x0
	v_fma_f32 v8, v4, v9, -v8
	s_wait_alu 0xfffd
	v_add_co_ci_u32_e64 v1, null, 0, v1, vcc_lo
	s_wait_kmcnt 0x0
	s_delay_alu instid0(VALU_DEP_2)
	v_mul_f32_e32 v8, s1, v8
	global_store_b32 v[6:7], v8, off
	s_wait_alu 0xfffe
	s_and_not1_b32 exec_lo, exec_lo, s3
	s_cbranch_execnz .LBB9_20
.LBB9_21:
	s_endpgm
	.section	.rodata,"a",@progbits
	.p2align	6, 0x0
	.amdhsa_kernel _ZN2at6native12_GLOBAL__N_132weight_norm_bwd_first_dim_kernelIffEEvPT_S4_PKS3_S6_S6_PKT0_i
		.amdhsa_group_segment_fixed_size 0
		.amdhsa_private_segment_fixed_size 0
		.amdhsa_kernarg_size 312
		.amdhsa_user_sgpr_count 2
		.amdhsa_user_sgpr_dispatch_ptr 0
		.amdhsa_user_sgpr_queue_ptr 0
		.amdhsa_user_sgpr_kernarg_segment_ptr 1
		.amdhsa_user_sgpr_dispatch_id 0
		.amdhsa_user_sgpr_private_segment_size 0
		.amdhsa_wavefront_size32 1
		.amdhsa_uses_dynamic_stack 0
		.amdhsa_enable_private_segment 0
		.amdhsa_system_sgpr_workgroup_id_x 1
		.amdhsa_system_sgpr_workgroup_id_y 0
		.amdhsa_system_sgpr_workgroup_id_z 0
		.amdhsa_system_sgpr_workgroup_info 0
		.amdhsa_system_vgpr_workitem_id 1
		.amdhsa_next_free_vgpr 12
		.amdhsa_next_free_sgpr 18
		.amdhsa_reserve_vcc 1
		.amdhsa_float_round_mode_32 0
		.amdhsa_float_round_mode_16_64 0
		.amdhsa_float_denorm_mode_32 3
		.amdhsa_float_denorm_mode_16_64 3
		.amdhsa_fp16_overflow 0
		.amdhsa_workgroup_processor_mode 1
		.amdhsa_memory_ordered 1
		.amdhsa_forward_progress 1
		.amdhsa_inst_pref_size 10
		.amdhsa_round_robin_scheduling 0
		.amdhsa_exception_fp_ieee_invalid_op 0
		.amdhsa_exception_fp_denorm_src 0
		.amdhsa_exception_fp_ieee_div_zero 0
		.amdhsa_exception_fp_ieee_overflow 0
		.amdhsa_exception_fp_ieee_underflow 0
		.amdhsa_exception_fp_ieee_inexact 0
		.amdhsa_exception_int_div_zero 0
	.end_amdhsa_kernel
	.section	.text._ZN2at6native12_GLOBAL__N_132weight_norm_bwd_first_dim_kernelIffEEvPT_S4_PKS3_S6_S6_PKT0_i,"axG",@progbits,_ZN2at6native12_GLOBAL__N_132weight_norm_bwd_first_dim_kernelIffEEvPT_S4_PKS3_S6_S6_PKT0_i,comdat
.Lfunc_end9:
	.size	_ZN2at6native12_GLOBAL__N_132weight_norm_bwd_first_dim_kernelIffEEvPT_S4_PKS3_S6_S6_PKT0_i, .Lfunc_end9-_ZN2at6native12_GLOBAL__N_132weight_norm_bwd_first_dim_kernelIffEEvPT_S4_PKS3_S6_S6_PKT0_i
                                        ; -- End function
	.set _ZN2at6native12_GLOBAL__N_132weight_norm_bwd_first_dim_kernelIffEEvPT_S4_PKS3_S6_S6_PKT0_i.num_vgpr, 12
	.set _ZN2at6native12_GLOBAL__N_132weight_norm_bwd_first_dim_kernelIffEEvPT_S4_PKS3_S6_S6_PKT0_i.num_agpr, 0
	.set _ZN2at6native12_GLOBAL__N_132weight_norm_bwd_first_dim_kernelIffEEvPT_S4_PKS3_S6_S6_PKT0_i.numbered_sgpr, 18
	.set _ZN2at6native12_GLOBAL__N_132weight_norm_bwd_first_dim_kernelIffEEvPT_S4_PKS3_S6_S6_PKT0_i.num_named_barrier, 0
	.set _ZN2at6native12_GLOBAL__N_132weight_norm_bwd_first_dim_kernelIffEEvPT_S4_PKS3_S6_S6_PKT0_i.private_seg_size, 0
	.set _ZN2at6native12_GLOBAL__N_132weight_norm_bwd_first_dim_kernelIffEEvPT_S4_PKS3_S6_S6_PKT0_i.uses_vcc, 1
	.set _ZN2at6native12_GLOBAL__N_132weight_norm_bwd_first_dim_kernelIffEEvPT_S4_PKS3_S6_S6_PKT0_i.uses_flat_scratch, 0
	.set _ZN2at6native12_GLOBAL__N_132weight_norm_bwd_first_dim_kernelIffEEvPT_S4_PKS3_S6_S6_PKT0_i.has_dyn_sized_stack, 0
	.set _ZN2at6native12_GLOBAL__N_132weight_norm_bwd_first_dim_kernelIffEEvPT_S4_PKS3_S6_S6_PKT0_i.has_recursion, 0
	.set _ZN2at6native12_GLOBAL__N_132weight_norm_bwd_first_dim_kernelIffEEvPT_S4_PKS3_S6_S6_PKT0_i.has_indirect_call, 0
	.section	.AMDGPU.csdata,"",@progbits
; Kernel info:
; codeLenInByte = 1264
; TotalNumSgprs: 20
; NumVgprs: 12
; ScratchSize: 0
; MemoryBound: 0
; FloatMode: 240
; IeeeMode: 1
; LDSByteSize: 0 bytes/workgroup (compile time only)
; SGPRBlocks: 0
; VGPRBlocks: 1
; NumSGPRsForWavesPerEU: 20
; NumVGPRsForWavesPerEU: 12
; Occupancy: 16
; WaveLimiterHint : 0
; COMPUTE_PGM_RSRC2:SCRATCH_EN: 0
; COMPUTE_PGM_RSRC2:USER_SGPR: 2
; COMPUTE_PGM_RSRC2:TRAP_HANDLER: 0
; COMPUTE_PGM_RSRC2:TGID_X_EN: 1
; COMPUTE_PGM_RSRC2:TGID_Y_EN: 0
; COMPUTE_PGM_RSRC2:TGID_Z_EN: 0
; COMPUTE_PGM_RSRC2:TIDIG_COMP_CNT: 1
	.section	.text._ZN2at6native12_GLOBAL__N_132weight_norm_bwd_first_dim_kernelIN3c108BFloat16EfEEvPT_S6_PKS5_S8_S8_PKT0_i,"axG",@progbits,_ZN2at6native12_GLOBAL__N_132weight_norm_bwd_first_dim_kernelIN3c108BFloat16EfEEvPT_S6_PKS5_S8_S8_PKT0_i,comdat
	.globl	_ZN2at6native12_GLOBAL__N_132weight_norm_bwd_first_dim_kernelIN3c108BFloat16EfEEvPT_S6_PKS5_S8_S8_PKT0_i ; -- Begin function _ZN2at6native12_GLOBAL__N_132weight_norm_bwd_first_dim_kernelIN3c108BFloat16EfEEvPT_S6_PKS5_S8_S8_PKT0_i
	.p2align	8
	.type	_ZN2at6native12_GLOBAL__N_132weight_norm_bwd_first_dim_kernelIN3c108BFloat16EfEEvPT_S6_PKS5_S8_S8_PKT0_i,@function
_ZN2at6native12_GLOBAL__N_132weight_norm_bwd_first_dim_kernelIN3c108BFloat16EfEEvPT_S6_PKS5_S8_S8_PKT0_i: ; @_ZN2at6native12_GLOBAL__N_132weight_norm_bwd_first_dim_kernelIN3c108BFloat16EfEEvPT_S6_PKS5_S8_S8_PKT0_i
; %bb.0:
	s_clause 0x3
	s_load_b32 s18, s[0:1], 0x30
	s_load_b32 s3, s[0:1], 0x44
	s_load_b64 s[12:13], s[0:1], 0x0
	s_load_b128 s[4:7], s[0:1], 0x10
	v_dual_mov_b32 v4, 0 :: v_dual_and_b32 v3, 0x3ff, v0
	s_mov_b32 s14, ttmp9
	s_wait_kmcnt 0x0
	s_delay_alu instid0(VALU_DEP_1)
	v_cmp_gt_i32_e64 s2, s18, v3
	s_and_b32 s19, s3, 0xffff
	s_mul_i32 s20, s18, ttmp9
	s_and_saveexec_b32 s8, s2
	s_cbranch_execz .LBB10_4
; %bb.1:
	v_dual_mov_b32 v4, 0 :: v_dual_add_nc_u32 v1, s20, v3
	v_mov_b32_e32 v5, v3
	s_wait_alu 0xfffe
	s_lshl_b32 s10, s19, 1
	s_mov_b32 s9, 0
	v_ashrrev_i32_e32 v2, 31, v1
	s_delay_alu instid0(VALU_DEP_1)
	v_lshlrev_b64_e32 v[1:2], 1, v[1:2]
.LBB10_2:                               ; =>This Inner Loop Header: Depth=1
	s_delay_alu instid0(VALU_DEP_1) | instskip(SKIP_1) | instid1(VALU_DEP_2)
	v_add_co_u32 v6, vcc_lo, s6, v1
	s_wait_alu 0xfffd
	v_add_co_ci_u32_e64 v7, null, s7, v2, vcc_lo
	v_add_co_u32 v8, vcc_lo, s4, v1
	s_wait_alu 0xfffd
	v_add_co_ci_u32_e64 v9, null, s5, v2, vcc_lo
	global_load_u16 v6, v[6:7], off
	global_load_u16 v7, v[8:9], off
	v_add_co_u32 v1, vcc_lo, v1, s10
	s_wait_alu 0xfffd
	v_add_co_ci_u32_e64 v2, null, 0, v2, vcc_lo
	s_wait_loadcnt 0x1
	v_lshlrev_b32_e32 v6, 16, v6
	s_wait_loadcnt 0x0
	v_lshlrev_b32_e32 v7, 16, v7
	s_delay_alu instid0(VALU_DEP_1) | instskip(NEXT) | instid1(VALU_DEP_1)
	v_dual_fmac_f32 v4, v7, v6 :: v_dual_add_nc_u32 v5, s19, v5
	v_cmp_le_i32_e64 s3, s18, v5
	s_or_b32 s9, s3, s9
	s_delay_alu instid0(SALU_CYCLE_1)
	s_and_not1_b32 exec_lo, exec_lo, s9
	s_cbranch_execnz .LBB10_2
; %bb.3:
	s_or_b32 exec_lo, exec_lo, s9
.LBB10_4:
	s_delay_alu instid0(SALU_CYCLE_1)
	s_or_b32 exec_lo, exec_lo, s8
	s_clause 0x1
	s_load_b64 s[16:17], s[0:1], 0x8
	s_load_b128 s[8:11], s[0:1], 0x20
	s_add_nc_u64 s[0:1], s[0:1], 56
	v_bfe_u32 v0, v0, 10, 10
	s_load_u16 s0, s[0:1], 0xe
	s_delay_alu instid0(VALU_DEP_1) | instskip(SKIP_2) | instid1(SALU_CYCLE_1)
	v_mad_u32_u24 v0, v0, s19, v3
	s_wait_kmcnt 0x0
	s_mul_i32 s0, s0, s19
	s_cmp_gt_i32 s0, 63
	s_cselect_b32 s1, -1, 0
	s_cmp_lt_i32 s0, 64
	s_cbranch_scc1 .LBB10_6
; %bb.5:
	v_lshl_add_u32 v1, v0, 2, 0
	ds_store_b32 v1, v4
	s_wait_dscnt 0x0
	s_barrier_signal -1
	s_barrier_wait -1
	global_inv scope:SCOPE_SE
.LBB10_6:
	s_ashr_i32 s0, s0, 1
	s_delay_alu instid0(SALU_CYCLE_1)
	s_cmp_lt_i32 s0, 64
	s_cbranch_scc1 .LBB10_11
; %bb.7:
	v_lshl_add_u32 v1, v0, 2, 0
	s_branch .LBB10_9
.LBB10_8:                               ;   in Loop: Header=BB10_9 Depth=1
	s_or_b32 exec_lo, exec_lo, s3
	s_lshr_b32 s3, s0, 1
	s_cmp_lt_u32 s0, 0x80
	s_mov_b32 s0, s3
	s_wait_loadcnt_dscnt 0x0
	s_barrier_signal -1
	s_barrier_wait -1
	global_inv scope:SCOPE_SE
	s_cbranch_scc1 .LBB10_11
.LBB10_9:                               ; =>This Inner Loop Header: Depth=1
	s_mov_b32 s3, exec_lo
	s_wait_alu 0xfffe
	v_cmpx_gt_i32_e64 s0, v0
	s_cbranch_execz .LBB10_8
; %bb.10:                               ;   in Loop: Header=BB10_9 Depth=1
	v_lshl_add_u32 v2, s0, 2, v1
	ds_load_b32 v5, v1
	ds_load_b32 v2, v2
	s_wait_dscnt 0x0
	v_add_f32_e32 v2, v5, v2
	ds_store_b32 v1, v2
	s_branch .LBB10_8
.LBB10_11:
	s_mov_b32 s0, exec_lo
	v_cmpx_gt_u32_e32 32, v0
	s_cbranch_execz .LBB10_16
; %bb.12:
	s_and_not1_b32 vcc_lo, exec_lo, s1
	s_wait_alu 0xfffe
	s_cbranch_vccnz .LBB10_14
; %bb.13:
	v_lshl_add_u32 v1, v0, 2, 0
	ds_load_2addr_b32 v[1:2], v1 offset1:32
	s_wait_dscnt 0x0
	v_add_f32_e32 v4, v1, v2
.LBB10_14:
	v_mbcnt_lo_u32_b32 v1, -1, 0
	s_delay_alu instid0(VALU_DEP_1)
	v_lshl_or_b32 v2, v1, 2, 64
	v_cmp_gt_u32_e32 vcc_lo, 24, v1
	ds_bpermute_b32 v2, v2, v4
	s_wait_alu 0xfffd
	v_cndmask_b32_e64 v5, 0, 8, vcc_lo
	v_cmp_gt_u32_e32 vcc_lo, 28, v1
	s_delay_alu instid0(VALU_DEP_2)
	v_add_lshl_u32 v5, v5, v1, 2
	s_wait_dscnt 0x0
	v_add_f32_e32 v2, v4, v2
	ds_bpermute_b32 v4, v5, v2
	s_wait_alu 0xfffd
	v_cndmask_b32_e64 v5, 0, 4, vcc_lo
	v_cmp_gt_u32_e32 vcc_lo, 30, v1
	s_delay_alu instid0(VALU_DEP_2)
	v_add_lshl_u32 v5, v5, v1, 2
	s_wait_dscnt 0x0
	v_add_f32_e32 v2, v2, v4
	ds_bpermute_b32 v4, v5, v2
	s_wait_alu 0xfffd
	v_cndmask_b32_e64 v5, 0, 2, vcc_lo
	v_cmp_ne_u32_e32 vcc_lo, 31, v1
	s_delay_alu instid0(VALU_DEP_2)
	v_add_lshl_u32 v5, v5, v1, 2
	s_wait_dscnt 0x0
	v_add_f32_e32 v2, v2, v4
	ds_bpermute_b32 v4, v5, v2
	s_wait_alu 0xfffd
	v_add_co_ci_u32_e64 v5, null, 0, v1, vcc_lo
	v_cmp_eq_u32_e32 vcc_lo, 0, v0
	s_wait_dscnt 0x0
	s_delay_alu instid0(VALU_DEP_2)
	v_dual_add_f32 v1, v2, v4 :: v_dual_lshlrev_b32 v2, 2, v5
	ds_bpermute_b32 v2, v2, v1
	s_and_b32 exec_lo, exec_lo, vcc_lo
	s_cbranch_execz .LBB10_16
; %bb.15:
	s_wait_dscnt 0x0
	v_dual_add_f32 v0, v1, v2 :: v_dual_mov_b32 v1, 0
	ds_store_b32 v1, v0
.LBB10_16:
	s_wait_alu 0xfffe
	s_or_b32 exec_lo, exec_lo, s0
	s_ashr_i32 s15, s14, 31
	s_wait_loadcnt_dscnt 0x0
	s_lshl_b64 s[0:1], s[14:15], 2
	s_barrier_signal -1
	s_wait_alu 0xfffe
	s_add_nc_u64 s[0:1], s[10:11], s[0:1]
	s_barrier_wait -1
	global_inv scope:SCOPE_SE
	s_load_b32 s0, s[0:1], 0x0
	s_wait_kmcnt 0x0
	v_div_scale_f32 v0, null, s0, s0, 1.0
	v_div_scale_f32 v4, vcc_lo, 1.0, s0, 1.0
	s_delay_alu instid0(VALU_DEP_2)
	v_rcp_f32_e32 v1, v0
	v_xor_b32_e32 v2, 0x80000000, v0
	s_delay_alu instid0(TRANS32_DEP_1) | instid1(VALU_DEP_1)
	v_fma_f32 v0, v2, v1, 1.0
	s_delay_alu instid0(VALU_DEP_1) | instskip(NEXT) | instid1(VALU_DEP_1)
	v_dual_fmac_f32 v1, v0, v1 :: v_dual_mov_b32 v0, 0
	v_mul_f32_e32 v5, v4, v1
	ds_load_b32 v7, v0
	v_fma_f32 v6, v2, v5, v4
	s_delay_alu instid0(VALU_DEP_1) | instskip(NEXT) | instid1(VALU_DEP_1)
	v_fmac_f32_e32 v5, v6, v1
	v_fmac_f32_e32 v4, v2, v5
	s_wait_alu 0xfffd
	s_delay_alu instid0(VALU_DEP_1) | instskip(SKIP_2) | instid1(VALU_DEP_2)
	v_div_fmas_f32 v1, v4, v1, v5
	s_wait_dscnt 0x0
	v_readfirstlane_b32 s3, v7
	v_div_fixup_f32 v1, v1, s0, 1.0
	s_mov_b32 s0, exec_lo
	s_delay_alu instid0(VALU_DEP_1)
	v_readfirstlane_b32 s10, v1
	v_cmpx_eq_u32_e32 0, v3
	s_cbranch_execz .LBB10_18
; %bb.17:
	s_mul_f32 s1, s3, s10
	s_wait_alu 0xfffe
	s_delay_alu instid0(SALU_CYCLE_2)
	s_bfe_u32 s11, s1, 0x10010
	s_wait_alu 0xfffe
	s_add_co_i32 s11, s1, s11
	s_wait_alu 0xfffe
	s_addk_co_i32 s11, 0x7fff
	s_wait_alu 0xfffe
	s_lshr_b32 s11, s11, 16
	s_cmp_o_f32 s1, s1
	s_wait_alu 0xfffe
	s_cselect_b32 s1, s11, 0x7fc0
	s_lshl_b64 s[22:23], s[14:15], 1
	s_wait_alu 0xfffe
	v_mov_b32_e32 v1, s1
	s_add_nc_u64 s[16:17], s[16:17], s[22:23]
	global_store_b16 v0, v1, s[16:17]
.LBB10_18:
	s_wait_alu 0xfffe
	s_or_b32 exec_lo, exec_lo, s0
	s_and_saveexec_b32 s0, s2
	s_cbranch_execz .LBB10_28
; %bb.19:
	s_lshl_b64 s[0:1], s[14:15], 1
	v_add_nc_u32_e32 v0, 1, v3
	s_wait_alu 0xfffe
	s_add_nc_u64 s[0:1], s[8:9], s[0:1]
	s_mul_f32 s8, s10, s10
	s_load_u16 s0, s[0:1], 0x0
	s_and_b32 s1, s19, 0xffff
	v_max_i32_e32 v0, s18, v0
	s_wait_alu 0xfffe
	s_cmp_lg_u32 s1, 1
	s_cselect_b32 s1, -1, 0
	s_delay_alu instid0(VALU_DEP_1) | instskip(NEXT) | instid1(VALU_DEP_1)
	v_sub_nc_u32_e32 v2, v0, v3
	v_cmp_gt_u32_e32 vcc_lo, 2, v2
	s_wait_alu 0xfffe
	s_or_b32 s2, vcc_lo, s1
	s_mov_b32 s1, 0
	s_and_saveexec_b32 s9, s2
	s_delay_alu instid0(SALU_CYCLE_1)
	s_xor_b32 s2, exec_lo, s9
; %bb.20:
	s_mov_b32 s1, exec_lo
                                        ; implicit-def: $vgpr2
; %bb.21:
	s_or_saveexec_b32 s9, s2
	v_dual_mov_b32 v0, s10 :: v_dual_mov_b32 v1, s11
	s_mul_f32 s8, s10, s8
	s_wait_kmcnt 0x0
	s_lshl_b32 s2, s0, 16
	s_xor_b32 exec_lo, exec_lo, s9
	s_cbranch_execz .LBB10_25
; %bb.22:
	v_and_b32_e32 v4, -2, v2
	v_add_nc_u32_e32 v0, s20, v3
	s_mov_b32 s11, s10
	s_mov_b32 s14, s8
	;; [unrolled: 1-line block ×3, first 2 shown]
	v_mov_b32_e32 v5, v4
	s_mov_b32 s17, s2
	s_mov_b32 s16, 0
.LBB10_23:                              ; =>This Inner Loop Header: Depth=1
	v_ashrrev_i32_e32 v1, 31, v0
	s_delay_alu instid0(VALU_DEP_2) | instskip(NEXT) | instid1(VALU_DEP_2)
	v_add_nc_u32_e32 v5, -2, v5
	v_lshlrev_b64_e32 v[6:7], 1, v[0:1]
	v_add_nc_u32_e32 v0, 2, v0
	s_delay_alu instid0(VALU_DEP_2) | instskip(SKIP_1) | instid1(VALU_DEP_3)
	v_add_co_u32 v8, vcc_lo, s6, v6
	s_wait_alu 0xfffd
	v_add_co_ci_u32_e64 v9, null, s7, v7, vcc_lo
	global_load_b32 v1, v[8:9], off
	v_add_co_u32 v8, vcc_lo, s4, v6
	s_wait_alu 0xfffd
	v_add_co_ci_u32_e64 v9, null, s5, v7, vcc_lo
	v_add_co_u32 v6, s0, s12, v6
	s_wait_alu 0xf1ff
	v_add_co_ci_u32_e64 v7, null, s13, v7, s0
	global_load_b32 v8, v[8:9], off
	s_wait_loadcnt 0x1
	v_lshlrev_b32_e32 v9, 16, v1
	v_and_b32_e32 v1, 0xffff0000, v1
	s_delay_alu instid0(VALU_DEP_2) | instskip(SKIP_1) | instid1(VALU_DEP_2)
	v_mul_f32_e32 v9, s8, v9
	s_wait_loadcnt 0x0
	v_dual_mul_f32 v1, s14, v1 :: v_dual_lshlrev_b32 v10, 16, v8
	s_delay_alu instid0(VALU_DEP_2) | instskip(NEXT) | instid1(VALU_DEP_2)
	v_dual_mul_f32 v9, s3, v9 :: v_dual_and_b32 v8, 0xffff0000, v8
	v_mul_f32_e32 v1, s15, v1
	s_delay_alu instid0(VALU_DEP_2) | instskip(SKIP_1) | instid1(VALU_DEP_2)
	v_fma_f32 v9, s10, v10, -v9
	s_wait_alu 0xfffe
	v_fma_f32 v1, s11, v8, -v1
	s_delay_alu instid0(VALU_DEP_2) | instskip(NEXT) | instid1(VALU_DEP_2)
	v_mul_f32_e32 v8, s2, v9
	v_mul_f32_e32 v1, s17, v1
	s_delay_alu instid0(VALU_DEP_2) | instskip(SKIP_1) | instid1(VALU_DEP_3)
	v_lshrrev_b32_e32 v9, 16, v8
	v_cmp_o_f32_e32 vcc_lo, v8, v8
	v_lshrrev_b32_e32 v10, 16, v1
	s_delay_alu instid0(VALU_DEP_3) | instskip(NEXT) | instid1(VALU_DEP_2)
	v_and_b32_e32 v9, 1, v9
	v_and_b32_e32 v10, 1, v10
	s_delay_alu instid0(VALU_DEP_2) | instskip(NEXT) | instid1(VALU_DEP_2)
	v_add3_u32 v9, v8, v9, 0x7fff
	v_add3_u32 v10, v1, v10, 0x7fff
	s_delay_alu instid0(VALU_DEP_2) | instskip(NEXT) | instid1(VALU_DEP_2)
	v_lshrrev_b32_e32 v9, 16, v9
	v_lshrrev_b32_e32 v10, 16, v10
	s_wait_alu 0xfffd
	s_delay_alu instid0(VALU_DEP_2) | instskip(SKIP_4) | instid1(VALU_DEP_2)
	v_cndmask_b32_e32 v8, 0x7fc0, v9, vcc_lo
	v_cmp_o_f32_e32 vcc_lo, v1, v1
	s_wait_alu 0xfffd
	v_cndmask_b32_e32 v1, 0x7fc0, v10, vcc_lo
	v_cmp_eq_u32_e32 vcc_lo, 0, v5
	v_perm_b32 v1, v1, v8, 0x5040100
	s_or_b32 s16, vcc_lo, s16
	global_store_b32 v[6:7], v1, off
	s_wait_alu 0xfffe
	s_and_not1_b32 exec_lo, exec_lo, s16
	s_cbranch_execnz .LBB10_23
; %bb.24:
	s_or_b32 exec_lo, exec_lo, s16
	v_cmp_ne_u32_e32 vcc_lo, v2, v4
	v_dual_mov_b32 v0, s10 :: v_dual_add_nc_u32 v3, v3, v4
	s_and_not1_b32 s0, s1, exec_lo
	v_mov_b32_e32 v1, s11
	s_and_b32 s1, vcc_lo, exec_lo
	s_wait_alu 0xfffe
	s_or_b32 s1, s0, s1
.LBB10_25:
	s_or_b32 exec_lo, exec_lo, s9
	s_wait_alu 0xfffe
	s_and_b32 exec_lo, exec_lo, s1
	s_cbranch_execz .LBB10_28
; %bb.26:
	v_ashrrev_i32_e32 v2, 31, v3
	s_ashr_i32 s0, s20, 31
	v_add_co_u32 v1, vcc_lo, v3, s20
	v_mov_b32_e32 v4, s8
	s_wait_alu 0xfffc
	v_add_co_ci_u32_e64 v2, null, s0, v2, vcc_lo
	s_lshl_b32 s8, s19, 1
	s_mov_b32 s9, 0
	v_lshlrev_b64_e32 v[1:2], 1, v[1:2]
.LBB10_27:                              ; =>This Inner Loop Header: Depth=1
	s_delay_alu instid0(VALU_DEP_1) | instskip(SKIP_1) | instid1(VALU_DEP_2)
	v_add_co_u32 v5, vcc_lo, s4, v1
	s_wait_alu 0xfffd
	v_add_co_ci_u32_e64 v6, null, s5, v2, vcc_lo
	v_add_co_u32 v7, vcc_lo, s6, v1
	s_wait_alu 0xfffd
	v_add_co_ci_u32_e64 v8, null, s7, v2, vcc_lo
	global_load_u16 v5, v[5:6], off
	global_load_u16 v6, v[7:8], off
	v_add_nc_u32_e32 v3, s19, v3
	s_delay_alu instid0(VALU_DEP_1) | instskip(SKIP_4) | instid1(VALU_DEP_1)
	v_cmp_le_i32_e64 s0, s18, v3
	s_wait_alu 0xfffe
	s_or_b32 s9, s0, s9
	s_wait_loadcnt 0x0
	v_lshlrev_b32_e32 v6, 16, v6
	v_dual_mul_f32 v6, v4, v6 :: v_dual_lshlrev_b32 v5, 16, v5
	s_delay_alu instid0(VALU_DEP_1) | instskip(NEXT) | instid1(VALU_DEP_1)
	v_mul_f32_e32 v5, v0, v5
	v_fma_f32 v5, -s3, v6, v5
	s_delay_alu instid0(VALU_DEP_1) | instskip(NEXT) | instid1(VALU_DEP_1)
	v_mul_f32_e32 v7, s2, v5
	v_bfe_u32 v5, v7, 16, 1
	v_cmp_o_f32_e64 s1, v7, v7
	s_delay_alu instid0(VALU_DEP_2) | instskip(SKIP_3) | instid1(VALU_DEP_3)
	v_add3_u32 v8, v7, v5, 0x7fff
	v_add_co_u32 v5, vcc_lo, s12, v1
	s_wait_alu 0xfffd
	v_add_co_ci_u32_e64 v6, null, s13, v2, vcc_lo
	v_lshrrev_b32_e32 v8, 16, v8
	v_add_co_u32 v1, vcc_lo, v1, s8
	s_wait_alu 0xfffd
	v_add_co_ci_u32_e64 v2, null, 0, v2, vcc_lo
	s_wait_alu 0xf1ff
	v_cndmask_b32_e64 v7, 0x7fc0, v8, s1
	global_store_b16 v[5:6], v7, off
	s_wait_alu 0xfffe
	s_and_not1_b32 exec_lo, exec_lo, s9
	s_cbranch_execnz .LBB10_27
.LBB10_28:
	s_endpgm
	.section	.rodata,"a",@progbits
	.p2align	6, 0x0
	.amdhsa_kernel _ZN2at6native12_GLOBAL__N_132weight_norm_bwd_first_dim_kernelIN3c108BFloat16EfEEvPT_S6_PKS5_S8_S8_PKT0_i
		.amdhsa_group_segment_fixed_size 0
		.amdhsa_private_segment_fixed_size 0
		.amdhsa_kernarg_size 312
		.amdhsa_user_sgpr_count 2
		.amdhsa_user_sgpr_dispatch_ptr 0
		.amdhsa_user_sgpr_queue_ptr 0
		.amdhsa_user_sgpr_kernarg_segment_ptr 1
		.amdhsa_user_sgpr_dispatch_id 0
		.amdhsa_user_sgpr_private_segment_size 0
		.amdhsa_wavefront_size32 1
		.amdhsa_uses_dynamic_stack 0
		.amdhsa_enable_private_segment 0
		.amdhsa_system_sgpr_workgroup_id_x 1
		.amdhsa_system_sgpr_workgroup_id_y 0
		.amdhsa_system_sgpr_workgroup_id_z 0
		.amdhsa_system_sgpr_workgroup_info 0
		.amdhsa_system_vgpr_workitem_id 1
		.amdhsa_next_free_vgpr 11
		.amdhsa_next_free_sgpr 24
		.amdhsa_reserve_vcc 1
		.amdhsa_float_round_mode_32 0
		.amdhsa_float_round_mode_16_64 0
		.amdhsa_float_denorm_mode_32 3
		.amdhsa_float_denorm_mode_16_64 3
		.amdhsa_fp16_overflow 0
		.amdhsa_workgroup_processor_mode 1
		.amdhsa_memory_ordered 1
		.amdhsa_forward_progress 1
		.amdhsa_inst_pref_size 16
		.amdhsa_round_robin_scheduling 0
		.amdhsa_exception_fp_ieee_invalid_op 0
		.amdhsa_exception_fp_denorm_src 0
		.amdhsa_exception_fp_ieee_div_zero 0
		.amdhsa_exception_fp_ieee_overflow 0
		.amdhsa_exception_fp_ieee_underflow 0
		.amdhsa_exception_fp_ieee_inexact 0
		.amdhsa_exception_int_div_zero 0
	.end_amdhsa_kernel
	.section	.text._ZN2at6native12_GLOBAL__N_132weight_norm_bwd_first_dim_kernelIN3c108BFloat16EfEEvPT_S6_PKS5_S8_S8_PKT0_i,"axG",@progbits,_ZN2at6native12_GLOBAL__N_132weight_norm_bwd_first_dim_kernelIN3c108BFloat16EfEEvPT_S6_PKS5_S8_S8_PKT0_i,comdat
.Lfunc_end10:
	.size	_ZN2at6native12_GLOBAL__N_132weight_norm_bwd_first_dim_kernelIN3c108BFloat16EfEEvPT_S6_PKS5_S8_S8_PKT0_i, .Lfunc_end10-_ZN2at6native12_GLOBAL__N_132weight_norm_bwd_first_dim_kernelIN3c108BFloat16EfEEvPT_S6_PKS5_S8_S8_PKT0_i
                                        ; -- End function
	.set _ZN2at6native12_GLOBAL__N_132weight_norm_bwd_first_dim_kernelIN3c108BFloat16EfEEvPT_S6_PKS5_S8_S8_PKT0_i.num_vgpr, 11
	.set _ZN2at6native12_GLOBAL__N_132weight_norm_bwd_first_dim_kernelIN3c108BFloat16EfEEvPT_S6_PKS5_S8_S8_PKT0_i.num_agpr, 0
	.set _ZN2at6native12_GLOBAL__N_132weight_norm_bwd_first_dim_kernelIN3c108BFloat16EfEEvPT_S6_PKS5_S8_S8_PKT0_i.numbered_sgpr, 24
	.set _ZN2at6native12_GLOBAL__N_132weight_norm_bwd_first_dim_kernelIN3c108BFloat16EfEEvPT_S6_PKS5_S8_S8_PKT0_i.num_named_barrier, 0
	.set _ZN2at6native12_GLOBAL__N_132weight_norm_bwd_first_dim_kernelIN3c108BFloat16EfEEvPT_S6_PKS5_S8_S8_PKT0_i.private_seg_size, 0
	.set _ZN2at6native12_GLOBAL__N_132weight_norm_bwd_first_dim_kernelIN3c108BFloat16EfEEvPT_S6_PKS5_S8_S8_PKT0_i.uses_vcc, 1
	.set _ZN2at6native12_GLOBAL__N_132weight_norm_bwd_first_dim_kernelIN3c108BFloat16EfEEvPT_S6_PKS5_S8_S8_PKT0_i.uses_flat_scratch, 0
	.set _ZN2at6native12_GLOBAL__N_132weight_norm_bwd_first_dim_kernelIN3c108BFloat16EfEEvPT_S6_PKS5_S8_S8_PKT0_i.has_dyn_sized_stack, 0
	.set _ZN2at6native12_GLOBAL__N_132weight_norm_bwd_first_dim_kernelIN3c108BFloat16EfEEvPT_S6_PKS5_S8_S8_PKT0_i.has_recursion, 0
	.set _ZN2at6native12_GLOBAL__N_132weight_norm_bwd_first_dim_kernelIN3c108BFloat16EfEEvPT_S6_PKS5_S8_S8_PKT0_i.has_indirect_call, 0
	.section	.AMDGPU.csdata,"",@progbits
; Kernel info:
; codeLenInByte = 1964
; TotalNumSgprs: 26
; NumVgprs: 11
; ScratchSize: 0
; MemoryBound: 0
; FloatMode: 240
; IeeeMode: 1
; LDSByteSize: 0 bytes/workgroup (compile time only)
; SGPRBlocks: 0
; VGPRBlocks: 1
; NumSGPRsForWavesPerEU: 26
; NumVGPRsForWavesPerEU: 11
; Occupancy: 16
; WaveLimiterHint : 0
; COMPUTE_PGM_RSRC2:SCRATCH_EN: 0
; COMPUTE_PGM_RSRC2:USER_SGPR: 2
; COMPUTE_PGM_RSRC2:TRAP_HANDLER: 0
; COMPUTE_PGM_RSRC2:TGID_X_EN: 1
; COMPUTE_PGM_RSRC2:TGID_Y_EN: 0
; COMPUTE_PGM_RSRC2:TGID_Z_EN: 0
; COMPUTE_PGM_RSRC2:TIDIG_COMP_CNT: 1
	.section	.text._ZN2at6native12_GLOBAL__N_132weight_norm_bwd_first_dim_kernelIN3c104HalfEfEEvPT_S6_PKS5_S8_S8_PKT0_i,"axG",@progbits,_ZN2at6native12_GLOBAL__N_132weight_norm_bwd_first_dim_kernelIN3c104HalfEfEEvPT_S6_PKS5_S8_S8_PKT0_i,comdat
	.globl	_ZN2at6native12_GLOBAL__N_132weight_norm_bwd_first_dim_kernelIN3c104HalfEfEEvPT_S6_PKS5_S8_S8_PKT0_i ; -- Begin function _ZN2at6native12_GLOBAL__N_132weight_norm_bwd_first_dim_kernelIN3c104HalfEfEEvPT_S6_PKS5_S8_S8_PKT0_i
	.p2align	8
	.type	_ZN2at6native12_GLOBAL__N_132weight_norm_bwd_first_dim_kernelIN3c104HalfEfEEvPT_S6_PKS5_S8_S8_PKT0_i,@function
_ZN2at6native12_GLOBAL__N_132weight_norm_bwd_first_dim_kernelIN3c104HalfEfEEvPT_S6_PKS5_S8_S8_PKT0_i: ; @_ZN2at6native12_GLOBAL__N_132weight_norm_bwd_first_dim_kernelIN3c104HalfEfEEvPT_S6_PKS5_S8_S8_PKT0_i
; %bb.0:
	s_clause 0x3
	s_load_b32 s18, s[0:1], 0x30
	s_load_b32 s3, s[0:1], 0x44
	s_load_b64 s[12:13], s[0:1], 0x0
	s_load_b128 s[4:7], s[0:1], 0x10
	v_dual_mov_b32 v4, 0 :: v_dual_and_b32 v3, 0x3ff, v0
	s_mov_b32 s14, ttmp9
	s_wait_kmcnt 0x0
	s_delay_alu instid0(VALU_DEP_1)
	v_cmp_gt_i32_e64 s2, s18, v3
	s_and_b32 s19, s3, 0xffff
	s_mul_i32 s20, s18, ttmp9
	s_and_saveexec_b32 s8, s2
	s_cbranch_execz .LBB11_4
; %bb.1:
	v_dual_mov_b32 v4, 0 :: v_dual_add_nc_u32 v1, s20, v3
	v_mov_b32_e32 v5, v3
	s_wait_alu 0xfffe
	s_lshl_b32 s10, s19, 1
	s_mov_b32 s9, 0
	v_ashrrev_i32_e32 v2, 31, v1
	s_delay_alu instid0(VALU_DEP_1)
	v_lshlrev_b64_e32 v[1:2], 1, v[1:2]
.LBB11_2:                               ; =>This Inner Loop Header: Depth=1
	s_delay_alu instid0(VALU_DEP_1) | instskip(SKIP_1) | instid1(VALU_DEP_2)
	v_add_co_u32 v6, vcc_lo, s4, v1
	s_wait_alu 0xfffd
	v_add_co_ci_u32_e64 v7, null, s5, v2, vcc_lo
	v_add_co_u32 v8, vcc_lo, s6, v1
	s_wait_alu 0xfffd
	v_add_co_ci_u32_e64 v9, null, s7, v2, vcc_lo
	global_load_u16 v6, v[6:7], off
	global_load_u16 v7, v[8:9], off
	v_add_nc_u32_e32 v5, s19, v5
	v_add_co_u32 v1, vcc_lo, v1, s10
	s_wait_alu 0xfffd
	v_add_co_ci_u32_e64 v2, null, 0, v2, vcc_lo
	s_delay_alu instid0(VALU_DEP_3)
	v_cmp_le_i32_e64 s3, s18, v5
	s_or_b32 s9, s3, s9
	s_wait_loadcnt 0x0
	v_fma_mix_f32 v4, v6, v7, v4 op_sel_hi:[1,1,0]
	s_and_not1_b32 exec_lo, exec_lo, s9
	s_cbranch_execnz .LBB11_2
; %bb.3:
	s_or_b32 exec_lo, exec_lo, s9
.LBB11_4:
	s_delay_alu instid0(SALU_CYCLE_1)
	s_or_b32 exec_lo, exec_lo, s8
	s_clause 0x1
	s_load_b64 s[16:17], s[0:1], 0x8
	s_load_b128 s[8:11], s[0:1], 0x20
	s_add_nc_u64 s[0:1], s[0:1], 56
	v_bfe_u32 v0, v0, 10, 10
	s_load_u16 s0, s[0:1], 0xe
	s_delay_alu instid0(VALU_DEP_1) | instskip(SKIP_2) | instid1(SALU_CYCLE_1)
	v_mad_u32_u24 v0, v0, s19, v3
	s_wait_kmcnt 0x0
	s_mul_i32 s0, s0, s19
	s_cmp_gt_i32 s0, 63
	s_cselect_b32 s1, -1, 0
	s_cmp_lt_i32 s0, 64
	s_cbranch_scc1 .LBB11_6
; %bb.5:
	v_lshl_add_u32 v1, v0, 2, 0
	ds_store_b32 v1, v4
	s_wait_dscnt 0x0
	s_barrier_signal -1
	s_barrier_wait -1
	global_inv scope:SCOPE_SE
.LBB11_6:
	s_ashr_i32 s0, s0, 1
	s_delay_alu instid0(SALU_CYCLE_1)
	s_cmp_lt_i32 s0, 64
	s_cbranch_scc1 .LBB11_11
; %bb.7:
	v_lshl_add_u32 v1, v0, 2, 0
	s_branch .LBB11_9
.LBB11_8:                               ;   in Loop: Header=BB11_9 Depth=1
	s_or_b32 exec_lo, exec_lo, s3
	s_lshr_b32 s3, s0, 1
	s_cmp_lt_u32 s0, 0x80
	s_mov_b32 s0, s3
	s_wait_loadcnt_dscnt 0x0
	s_barrier_signal -1
	s_barrier_wait -1
	global_inv scope:SCOPE_SE
	s_cbranch_scc1 .LBB11_11
.LBB11_9:                               ; =>This Inner Loop Header: Depth=1
	s_mov_b32 s3, exec_lo
	s_wait_alu 0xfffe
	v_cmpx_gt_i32_e64 s0, v0
	s_cbranch_execz .LBB11_8
; %bb.10:                               ;   in Loop: Header=BB11_9 Depth=1
	v_lshl_add_u32 v2, s0, 2, v1
	ds_load_b32 v5, v1
	ds_load_b32 v2, v2
	s_wait_dscnt 0x0
	v_add_f32_e32 v2, v5, v2
	ds_store_b32 v1, v2
	s_branch .LBB11_8
.LBB11_11:
	s_mov_b32 s0, exec_lo
	v_cmpx_gt_u32_e32 32, v0
	s_cbranch_execz .LBB11_16
; %bb.12:
	s_and_not1_b32 vcc_lo, exec_lo, s1
	s_wait_alu 0xfffe
	s_cbranch_vccnz .LBB11_14
; %bb.13:
	v_lshl_add_u32 v1, v0, 2, 0
	ds_load_2addr_b32 v[1:2], v1 offset1:32
	s_wait_dscnt 0x0
	v_add_f32_e32 v4, v1, v2
.LBB11_14:
	v_mbcnt_lo_u32_b32 v1, -1, 0
	s_delay_alu instid0(VALU_DEP_1)
	v_lshl_or_b32 v2, v1, 2, 64
	v_cmp_gt_u32_e32 vcc_lo, 24, v1
	ds_bpermute_b32 v2, v2, v4
	s_wait_alu 0xfffd
	v_cndmask_b32_e64 v5, 0, 8, vcc_lo
	v_cmp_gt_u32_e32 vcc_lo, 28, v1
	s_delay_alu instid0(VALU_DEP_2)
	v_add_lshl_u32 v5, v5, v1, 2
	s_wait_dscnt 0x0
	v_add_f32_e32 v2, v4, v2
	ds_bpermute_b32 v4, v5, v2
	s_wait_alu 0xfffd
	v_cndmask_b32_e64 v5, 0, 4, vcc_lo
	v_cmp_gt_u32_e32 vcc_lo, 30, v1
	s_delay_alu instid0(VALU_DEP_2)
	v_add_lshl_u32 v5, v5, v1, 2
	s_wait_dscnt 0x0
	v_add_f32_e32 v2, v2, v4
	ds_bpermute_b32 v4, v5, v2
	s_wait_alu 0xfffd
	v_cndmask_b32_e64 v5, 0, 2, vcc_lo
	v_cmp_ne_u32_e32 vcc_lo, 31, v1
	s_delay_alu instid0(VALU_DEP_2)
	v_add_lshl_u32 v5, v5, v1, 2
	s_wait_dscnt 0x0
	v_add_f32_e32 v2, v2, v4
	ds_bpermute_b32 v4, v5, v2
	s_wait_alu 0xfffd
	v_add_co_ci_u32_e64 v5, null, 0, v1, vcc_lo
	v_cmp_eq_u32_e32 vcc_lo, 0, v0
	s_wait_dscnt 0x0
	s_delay_alu instid0(VALU_DEP_2)
	v_dual_add_f32 v1, v2, v4 :: v_dual_lshlrev_b32 v2, 2, v5
	ds_bpermute_b32 v2, v2, v1
	s_and_b32 exec_lo, exec_lo, vcc_lo
	s_cbranch_execz .LBB11_16
; %bb.15:
	s_wait_dscnt 0x0
	v_dual_add_f32 v0, v1, v2 :: v_dual_mov_b32 v1, 0
	ds_store_b32 v1, v0
.LBB11_16:
	s_wait_alu 0xfffe
	s_or_b32 exec_lo, exec_lo, s0
	s_ashr_i32 s15, s14, 31
	s_wait_loadcnt_dscnt 0x0
	s_lshl_b64 s[0:1], s[14:15], 2
	s_barrier_signal -1
	s_wait_alu 0xfffe
	s_add_nc_u64 s[0:1], s[10:11], s[0:1]
	s_barrier_wait -1
	global_inv scope:SCOPE_SE
	s_load_b32 s0, s[0:1], 0x0
	s_wait_kmcnt 0x0
	v_div_scale_f32 v0, null, s0, s0, 1.0
	v_div_scale_f32 v5, vcc_lo, 1.0, s0, 1.0
	s_delay_alu instid0(VALU_DEP_2)
	v_rcp_f32_e32 v1, v0
	v_xor_b32_e32 v4, 0x80000000, v0
	s_delay_alu instid0(TRANS32_DEP_1) | instid1(VALU_DEP_1)
	v_fma_f32 v0, v4, v1, 1.0
	s_delay_alu instid0(VALU_DEP_1) | instskip(NEXT) | instid1(VALU_DEP_1)
	v_dual_fmac_f32 v1, v0, v1 :: v_dual_mov_b32 v0, 0
	v_mul_f32_e32 v6, v5, v1
	s_delay_alu instid0(VALU_DEP_1) | instskip(NEXT) | instid1(VALU_DEP_1)
	v_fma_f32 v2, v4, v6, v5
	v_fmac_f32_e32 v6, v2, v1
	ds_load_b32 v2, v0
	v_fmac_f32_e32 v5, v4, v6
	s_wait_alu 0xfffd
	s_delay_alu instid0(VALU_DEP_1) | instskip(NEXT) | instid1(VALU_DEP_1)
	v_div_fmas_f32 v1, v5, v1, v6
	v_div_fixup_f32 v4, v1, s0, 1.0
	s_mov_b32 s0, exec_lo
	v_cmpx_eq_u32_e32 0, v3
	s_cbranch_execz .LBB11_18
; %bb.17:
	s_wait_dscnt 0x0
	v_fma_mixlo_f16 v1, v2, v4, 0
	s_lshl_b64 s[10:11], s[14:15], 1
	s_wait_alu 0xfffe
	s_add_nc_u64 s[10:11], s[16:17], s[10:11]
	global_store_b16 v0, v1, s[10:11]
.LBB11_18:
	s_wait_alu 0xfffe
	s_or_b32 exec_lo, exec_lo, s0
	s_and_saveexec_b32 s0, s2
	s_cbranch_execz .LBB11_26
; %bb.19:
	v_dual_mov_b32 v0, 0 :: v_dual_add_nc_u32 v1, 1, v3
	s_lshl_b64 s[0:1], s[14:15], 1
	s_wait_alu 0xfffe
	s_add_nc_u64 s[0:1], s[8:9], s[0:1]
	global_load_u16 v0, v0, s[0:1]
	v_max_i32_e32 v1, s18, v1
	s_and_b32 s0, s19, 0xffff
	s_wait_alu 0xfffe
	s_cmp_eq_u32 s0, 1
	s_delay_alu instid0(VALU_DEP_1) | instskip(SKIP_2) | instid1(VALU_DEP_2)
	v_sub_nc_u32_e32 v7, v1, v3
	v_mul_f32_e32 v1, v4, v4
	s_cselect_b32 s0, -1, 0
	v_cmp_lt_u32_e32 vcc_lo, 1, v7
	s_delay_alu instid0(VALU_DEP_2)
	v_mul_f32_e32 v5, v4, v1
	s_wait_alu 0xfffe
	s_and_b32 s2, vcc_lo, s0
	s_mov_b32 s0, -1
	s_wait_loadcnt 0x0
	v_cvt_f32_f16_e32 v6, v0
	s_and_saveexec_b32 s1, s2
	s_cbranch_execz .LBB11_23
; %bb.20:
	v_and_b32_e32 v8, -2, v7
	v_add_nc_u32_e32 v0, s20, v3
	s_mov_b32 s2, 0
	s_delay_alu instid0(VALU_DEP_2)
	v_mov_b32_e32 v9, v8
.LBB11_21:                              ; =>This Inner Loop Header: Depth=1
	s_delay_alu instid0(VALU_DEP_2) | instskip(NEXT) | instid1(VALU_DEP_2)
	v_ashrrev_i32_e32 v1, 31, v0
	v_add_nc_u32_e32 v9, -2, v9
	s_delay_alu instid0(VALU_DEP_2) | instskip(SKIP_1) | instid1(VALU_DEP_2)
	v_lshlrev_b64_e32 v[10:11], 1, v[0:1]
	v_add_nc_u32_e32 v0, 2, v0
	v_add_co_u32 v12, vcc_lo, s6, v10
	s_wait_alu 0xfffd
	s_delay_alu instid0(VALU_DEP_3)
	v_add_co_ci_u32_e64 v13, null, s7, v11, vcc_lo
	global_load_b32 v1, v[12:13], off
	v_add_co_u32 v12, vcc_lo, s4, v10
	s_wait_alu 0xfffd
	v_add_co_ci_u32_e64 v13, null, s5, v11, vcc_lo
	v_cmp_eq_u32_e32 vcc_lo, 0, v9
	v_add_co_u32 v10, s0, s12, v10
	global_load_b32 v12, v[12:13], off
	s_wait_alu 0xf1fe
	v_add_co_ci_u32_e64 v11, null, s13, v11, s0
	s_or_b32 s2, vcc_lo, s2
	s_wait_loadcnt 0x1
	v_lshrrev_b32_e32 v13, 16, v1
	v_cvt_f32_f16_e32 v1, v1
	s_delay_alu instid0(VALU_DEP_2) | instskip(NEXT) | instid1(VALU_DEP_2)
	v_cvt_f32_f16_e32 v13, v13
	v_mul_f32_e32 v1, v5, v1
	s_delay_alu instid0(VALU_DEP_2) | instskip(SKIP_1) | instid1(VALU_DEP_2)
	v_mul_f32_e32 v13, v5, v13
	s_wait_dscnt 0x0
	v_mul_f32_e32 v1, v2, v1
	s_delay_alu instid0(VALU_DEP_2) | instskip(SKIP_1) | instid1(VALU_DEP_2)
	v_mul_f32_e32 v13, v2, v13
	s_wait_loadcnt 0x0
	v_fma_mix_f32 v1, v4, v12, -v1 op_sel_hi:[0,1,0]
	s_delay_alu instid0(VALU_DEP_2) | instskip(NEXT) | instid1(VALU_DEP_2)
	v_fma_mix_f32 v12, v4, v12, -v13 op_sel:[0,1,0] op_sel_hi:[0,1,0]
	v_fma_mixlo_f16 v1, v1, v6, 0
	s_delay_alu instid0(VALU_DEP_1)
	v_fma_mixhi_f16 v1, v12, v6, 0
	global_store_b32 v[10:11], v1, off
	s_and_not1_b32 exec_lo, exec_lo, s2
	s_cbranch_execnz .LBB11_21
; %bb.22:
	s_or_b32 exec_lo, exec_lo, s2
	v_cmp_ne_u32_e32 vcc_lo, v7, v8
	v_add_nc_u32_e32 v3, v3, v8
	s_or_not1_b32 s0, vcc_lo, exec_lo
.LBB11_23:
	s_wait_alu 0xfffe
	s_or_b32 exec_lo, exec_lo, s1
	s_delay_alu instid0(SALU_CYCLE_1)
	s_and_b32 exec_lo, exec_lo, s0
	s_cbranch_execz .LBB11_26
; %bb.24:
	v_ashrrev_i32_e32 v1, 31, v3
	s_ashr_i32 s0, s20, 31
	v_add_co_u32 v0, vcc_lo, v3, s20
	s_lshl_b32 s1, s19, 1
	s_wait_alu 0xfffc
	v_add_co_ci_u32_e64 v1, null, s0, v1, vcc_lo
	s_mov_b32 s2, 0
	v_lshlrev_b64_e32 v[0:1], 1, v[0:1]
.LBB11_25:                              ; =>This Inner Loop Header: Depth=1
	s_delay_alu instid0(VALU_DEP_1) | instskip(SKIP_1) | instid1(VALU_DEP_2)
	v_add_co_u32 v7, vcc_lo, s6, v0
	s_wait_alu 0xfffd
	v_add_co_ci_u32_e64 v8, null, s7, v1, vcc_lo
	v_add_nc_u32_e32 v3, s19, v3
	global_load_u16 v9, v[7:8], off
	v_add_co_u32 v7, vcc_lo, s4, v0
	s_wait_alu 0xfffd
	v_add_co_ci_u32_e64 v8, null, s5, v1, vcc_lo
	v_cmp_le_i32_e64 s0, s18, v3
	global_load_u16 v10, v[7:8], off
	s_or_b32 s2, s0, s2
	s_wait_loadcnt 0x1
	v_cvt_f32_f16_e32 v7, v9
	s_delay_alu instid0(VALU_DEP_1) | instskip(SKIP_2) | instid1(VALU_DEP_2)
	v_mul_f32_e32 v8, v5, v7
	v_add_co_u32 v7, vcc_lo, s12, v0
	s_wait_dscnt 0x0
	v_mul_f32_e32 v9, v2, v8
	s_wait_alu 0xfffd
	v_add_co_ci_u32_e64 v8, null, s13, v1, vcc_lo
	v_add_co_u32 v0, vcc_lo, v0, s1
	s_wait_loadcnt 0x0
	v_fma_mix_f32 v9, v4, v10, -v9 op_sel_hi:[0,1,0]
	s_wait_alu 0xfffd
	v_add_co_ci_u32_e64 v1, null, 0, v1, vcc_lo
	s_delay_alu instid0(VALU_DEP_2)
	v_fma_mixlo_f16 v9, v9, v6, 0
	global_store_b16 v[7:8], v9, off
	s_and_not1_b32 exec_lo, exec_lo, s2
	s_cbranch_execnz .LBB11_25
.LBB11_26:
	s_endpgm
	.section	.rodata,"a",@progbits
	.p2align	6, 0x0
	.amdhsa_kernel _ZN2at6native12_GLOBAL__N_132weight_norm_bwd_first_dim_kernelIN3c104HalfEfEEvPT_S6_PKS5_S8_S8_PKT0_i
		.amdhsa_group_segment_fixed_size 0
		.amdhsa_private_segment_fixed_size 0
		.amdhsa_kernarg_size 312
		.amdhsa_user_sgpr_count 2
		.amdhsa_user_sgpr_dispatch_ptr 0
		.amdhsa_user_sgpr_queue_ptr 0
		.amdhsa_user_sgpr_kernarg_segment_ptr 1
		.amdhsa_user_sgpr_dispatch_id 0
		.amdhsa_user_sgpr_private_segment_size 0
		.amdhsa_wavefront_size32 1
		.amdhsa_uses_dynamic_stack 0
		.amdhsa_enable_private_segment 0
		.amdhsa_system_sgpr_workgroup_id_x 1
		.amdhsa_system_sgpr_workgroup_id_y 0
		.amdhsa_system_sgpr_workgroup_id_z 0
		.amdhsa_system_sgpr_workgroup_info 0
		.amdhsa_system_vgpr_workitem_id 1
		.amdhsa_next_free_vgpr 14
		.amdhsa_next_free_sgpr 21
		.amdhsa_reserve_vcc 1
		.amdhsa_float_round_mode_32 0
		.amdhsa_float_round_mode_16_64 0
		.amdhsa_float_denorm_mode_32 3
		.amdhsa_float_denorm_mode_16_64 3
		.amdhsa_fp16_overflow 0
		.amdhsa_workgroup_processor_mode 1
		.amdhsa_memory_ordered 1
		.amdhsa_forward_progress 1
		.amdhsa_inst_pref_size 14
		.amdhsa_round_robin_scheduling 0
		.amdhsa_exception_fp_ieee_invalid_op 0
		.amdhsa_exception_fp_denorm_src 0
		.amdhsa_exception_fp_ieee_div_zero 0
		.amdhsa_exception_fp_ieee_overflow 0
		.amdhsa_exception_fp_ieee_underflow 0
		.amdhsa_exception_fp_ieee_inexact 0
		.amdhsa_exception_int_div_zero 0
	.end_amdhsa_kernel
	.section	.text._ZN2at6native12_GLOBAL__N_132weight_norm_bwd_first_dim_kernelIN3c104HalfEfEEvPT_S6_PKS5_S8_S8_PKT0_i,"axG",@progbits,_ZN2at6native12_GLOBAL__N_132weight_norm_bwd_first_dim_kernelIN3c104HalfEfEEvPT_S6_PKS5_S8_S8_PKT0_i,comdat
.Lfunc_end11:
	.size	_ZN2at6native12_GLOBAL__N_132weight_norm_bwd_first_dim_kernelIN3c104HalfEfEEvPT_S6_PKS5_S8_S8_PKT0_i, .Lfunc_end11-_ZN2at6native12_GLOBAL__N_132weight_norm_bwd_first_dim_kernelIN3c104HalfEfEEvPT_S6_PKS5_S8_S8_PKT0_i
                                        ; -- End function
	.set _ZN2at6native12_GLOBAL__N_132weight_norm_bwd_first_dim_kernelIN3c104HalfEfEEvPT_S6_PKS5_S8_S8_PKT0_i.num_vgpr, 14
	.set _ZN2at6native12_GLOBAL__N_132weight_norm_bwd_first_dim_kernelIN3c104HalfEfEEvPT_S6_PKS5_S8_S8_PKT0_i.num_agpr, 0
	.set _ZN2at6native12_GLOBAL__N_132weight_norm_bwd_first_dim_kernelIN3c104HalfEfEEvPT_S6_PKS5_S8_S8_PKT0_i.numbered_sgpr, 21
	.set _ZN2at6native12_GLOBAL__N_132weight_norm_bwd_first_dim_kernelIN3c104HalfEfEEvPT_S6_PKS5_S8_S8_PKT0_i.num_named_barrier, 0
	.set _ZN2at6native12_GLOBAL__N_132weight_norm_bwd_first_dim_kernelIN3c104HalfEfEEvPT_S6_PKS5_S8_S8_PKT0_i.private_seg_size, 0
	.set _ZN2at6native12_GLOBAL__N_132weight_norm_bwd_first_dim_kernelIN3c104HalfEfEEvPT_S6_PKS5_S8_S8_PKT0_i.uses_vcc, 1
	.set _ZN2at6native12_GLOBAL__N_132weight_norm_bwd_first_dim_kernelIN3c104HalfEfEEvPT_S6_PKS5_S8_S8_PKT0_i.uses_flat_scratch, 0
	.set _ZN2at6native12_GLOBAL__N_132weight_norm_bwd_first_dim_kernelIN3c104HalfEfEEvPT_S6_PKS5_S8_S8_PKT0_i.has_dyn_sized_stack, 0
	.set _ZN2at6native12_GLOBAL__N_132weight_norm_bwd_first_dim_kernelIN3c104HalfEfEEvPT_S6_PKS5_S8_S8_PKT0_i.has_recursion, 0
	.set _ZN2at6native12_GLOBAL__N_132weight_norm_bwd_first_dim_kernelIN3c104HalfEfEEvPT_S6_PKS5_S8_S8_PKT0_i.has_indirect_call, 0
	.section	.AMDGPU.csdata,"",@progbits
; Kernel info:
; codeLenInByte = 1668
; TotalNumSgprs: 23
; NumVgprs: 14
; ScratchSize: 0
; MemoryBound: 0
; FloatMode: 240
; IeeeMode: 1
; LDSByteSize: 0 bytes/workgroup (compile time only)
; SGPRBlocks: 0
; VGPRBlocks: 1
; NumSGPRsForWavesPerEU: 23
; NumVGPRsForWavesPerEU: 14
; Occupancy: 16
; WaveLimiterHint : 0
; COMPUTE_PGM_RSRC2:SCRATCH_EN: 0
; COMPUTE_PGM_RSRC2:USER_SGPR: 2
; COMPUTE_PGM_RSRC2:TRAP_HANDLER: 0
; COMPUTE_PGM_RSRC2:TGID_X_EN: 1
; COMPUTE_PGM_RSRC2:TGID_Y_EN: 0
; COMPUTE_PGM_RSRC2:TGID_Z_EN: 0
; COMPUTE_PGM_RSRC2:TIDIG_COMP_CNT: 1
	.section	.text._ZN2at6native12_GLOBAL__N_131weight_norm_bwd_last_dim_kernelIddEEvPT_S4_PKS3_S6_S6_PKT0_ii,"axG",@progbits,_ZN2at6native12_GLOBAL__N_131weight_norm_bwd_last_dim_kernelIddEEvPT_S4_PKS3_S6_S6_PKT0_ii,comdat
	.globl	_ZN2at6native12_GLOBAL__N_131weight_norm_bwd_last_dim_kernelIddEEvPT_S4_PKS3_S6_S6_PKT0_ii ; -- Begin function _ZN2at6native12_GLOBAL__N_131weight_norm_bwd_last_dim_kernelIddEEvPT_S4_PKS3_S6_S6_PKT0_ii
	.p2align	8
	.type	_ZN2at6native12_GLOBAL__N_131weight_norm_bwd_last_dim_kernelIddEEvPT_S4_PKS3_S6_S6_PKT0_ii,@function
_ZN2at6native12_GLOBAL__N_131weight_norm_bwd_last_dim_kernelIddEEvPT_S4_PKS3_S6_S6_PKT0_ii: ; @_ZN2at6native12_GLOBAL__N_131weight_norm_bwd_last_dim_kernelIddEEvPT_S4_PKS3_S6_S6_PKT0_ii
; %bb.0:
	s_clause 0x1
	s_load_b32 s17, s[0:1], 0x44
	s_load_b64 s[2:3], s[0:1], 0x30
	v_and_b32_e32 v2, 0x3ff, v0
	s_clause 0x1
	s_load_b128 s[12:15], s[0:1], 0x20
	s_load_b256 s[4:11], s[0:1], 0x0
	v_bfe_u32 v11, v0, 10, 10
	s_wait_kmcnt 0x0
	s_and_b32 s16, s17, 0xffff
	s_delay_alu instid0(VALU_DEP_1)
	v_cmp_gt_i32_e64 s0, s3, v11
	v_mad_co_u64_u32 v[3:4], null, ttmp9, s16, v[2:3]
	s_lshr_b32 s1, s17, 16
	v_mad_co_u64_u32 v[0:1], null, s2, v11, v[3:4]
	v_cmp_gt_i32_e32 vcc_lo, s2, v3
	v_mov_b32_e32 v4, 0
	v_mov_b32_e32 v5, 0
	s_wait_alu 0xfffe
	s_mul_i32 s2, s2, s1
	s_and_b32 s0, vcc_lo, s0
	s_wait_alu 0xfffe
	s_and_saveexec_b32 s17, s0
	s_cbranch_execz .LBB12_4
; %bb.1:
	v_dual_mov_b32 v4, 0 :: v_dual_mov_b32 v1, v11
	v_dual_mov_b32 v5, 0 :: v_dual_mov_b32 v6, v0
	s_mov_b32 s18, 0
.LBB12_2:                               ; =>This Inner Loop Header: Depth=1
	s_delay_alu instid0(VALU_DEP_1) | instskip(NEXT) | instid1(VALU_DEP_3)
	v_ashrrev_i32_e32 v7, 31, v6
	v_add_nc_u32_e32 v1, s1, v1
	s_delay_alu instid0(VALU_DEP_2) | instskip(SKIP_1) | instid1(VALU_DEP_2)
	v_lshlrev_b64_e32 v[7:8], 3, v[6:7]
	v_add_nc_u32_e32 v6, s2, v6
	v_add_co_u32 v9, vcc_lo, s8, v7
	s_wait_alu 0xfffd
	s_delay_alu instid0(VALU_DEP_3)
	v_add_co_ci_u32_e64 v10, null, s9, v8, vcc_lo
	v_add_co_u32 v7, vcc_lo, s10, v7
	s_wait_alu 0xfffd
	v_add_co_ci_u32_e64 v8, null, s11, v8, vcc_lo
	global_load_b64 v[9:10], v[9:10], off
	global_load_b64 v[7:8], v[7:8], off
	v_cmp_le_i32_e32 vcc_lo, s3, v1
	s_or_b32 s18, vcc_lo, s18
	s_wait_loadcnt 0x0
	v_fma_f64 v[4:5], v[9:10], v[7:8], v[4:5]
	s_and_not1_b32 exec_lo, exec_lo, s18
	s_cbranch_execnz .LBB12_2
; %bb.3:
	s_or_b32 exec_lo, exec_lo, s18
.LBB12_4:
	s_wait_alu 0xfffe
	s_or_b32 exec_lo, exec_lo, s17
	v_mad_u32_u24 v6, v11, s16, v2
	s_mul_i32 s17, s1, s16
	s_wait_alu 0xfffe
	s_cmp_gt_i32 s17, 63
	s_cselect_b32 s18, -1, 0
	v_lshl_add_u32 v1, v6, 3, 0
	s_cmp_lt_i32 s17, 64
	s_cbranch_scc1 .LBB12_6
; %bb.5:
	ds_store_b64 v1, v[4:5]
	s_wait_dscnt 0x0
	s_barrier_signal -1
	s_barrier_wait -1
	global_inv scope:SCOPE_SE
.LBB12_6:
	s_ashr_i32 s17, s17, 1
	s_wait_alu 0xfffe
	s_cmp_lt_i32 s17, 64
	s_cbranch_scc0 .LBB12_22
.LBB12_7:
	s_mov_b32 s17, exec_lo
	v_cmpx_gt_u32_e32 32, v6
	s_cbranch_execz .LBB12_15
; %bb.8:
	s_and_not1_b32 vcc_lo, exec_lo, s18
	s_wait_alu 0xfffe
	s_cbranch_vccnz .LBB12_10
; %bb.9:
	ds_load_2addr_b64 v[7:10], v1 offset1:32
	s_wait_dscnt 0x0
	v_add_f64_e32 v[4:5], v[7:8], v[9:10]
.LBB12_10:
	s_cmp_gt_u32 s16, 16
	s_mov_b32 s18, 16
	s_cbranch_scc1 .LBB12_13
; %bb.11:
	v_mbcnt_lo_u32_b32 v7, -1, 0
	s_delay_alu instid0(VALU_DEP_1)
	v_sub_nc_u32_e32 v8, 32, v7
.LBB12_12:                              ; =>This Inner Loop Header: Depth=1
	s_delay_alu instid0(VALU_DEP_1)
	v_cmp_lt_u32_e32 vcc_lo, s18, v8
	s_wait_alu 0xfffd
	v_cndmask_b32_e64 v9, 0, s18, vcc_lo
	s_lshr_b32 s18, s18, 1
	s_wait_alu 0xfffe
	s_cmp_lt_u32 s18, s16
	s_delay_alu instid0(VALU_DEP_1)
	v_add_lshl_u32 v10, v9, v7, 2
	ds_bpermute_b32 v9, v10, v4
	ds_bpermute_b32 v10, v10, v5
	s_wait_dscnt 0x0
	v_add_f64_e32 v[4:5], v[4:5], v[9:10]
	s_cbranch_scc0 .LBB12_12
.LBB12_13:
	v_cmp_gt_u32_e32 vcc_lo, s16, v6
	s_and_b32 exec_lo, exec_lo, vcc_lo
; %bb.14:
	ds_store_b64 v1, v[4:5]
.LBB12_15:
	s_wait_alu 0xfffe
	s_or_b32 exec_lo, exec_lo, s17
	v_ashrrev_i32_e32 v4, 31, v3
	s_wait_loadcnt_dscnt 0x0
	s_barrier_signal -1
	s_barrier_wait -1
	global_inv scope:SCOPE_SE
	v_lshlrev_b64_e32 v[7:8], 3, v[3:4]
	v_lshl_add_u32 v1, v2, 3, 0
	s_delay_alu instid0(VALU_DEP_2) | instskip(SKIP_1) | instid1(VALU_DEP_3)
	v_add_co_u32 v3, vcc_lo, s14, v7
	s_wait_alu 0xfffd
	v_add_co_ci_u32_e64 v4, null, s15, v8, vcc_lo
	s_mov_b32 s14, exec_lo
	global_load_b64 v[3:4], v[3:4], off
	s_wait_loadcnt 0x0
	v_div_scale_f64 v[5:6], null, v[3:4], v[3:4], 1.0
	s_delay_alu instid0(VALU_DEP_1) | instskip(NEXT) | instid1(TRANS32_DEP_1)
	v_rcp_f64_e32 v[9:10], v[5:6]
	v_fma_f64 v[12:13], -v[5:6], v[9:10], 1.0
	s_delay_alu instid0(VALU_DEP_1) | instskip(NEXT) | instid1(VALU_DEP_1)
	v_fma_f64 v[9:10], v[9:10], v[12:13], v[9:10]
	v_fma_f64 v[12:13], -v[5:6], v[9:10], 1.0
	s_delay_alu instid0(VALU_DEP_1) | instskip(SKIP_1) | instid1(VALU_DEP_1)
	v_fma_f64 v[9:10], v[9:10], v[12:13], v[9:10]
	v_div_scale_f64 v[12:13], vcc_lo, 1.0, v[3:4], 1.0
	v_mul_f64_e32 v[14:15], v[12:13], v[9:10]
	s_delay_alu instid0(VALU_DEP_1) | instskip(SKIP_1) | instid1(VALU_DEP_1)
	v_fma_f64 v[5:6], -v[5:6], v[14:15], v[12:13]
	s_wait_alu 0xfffd
	v_div_fmas_f64 v[5:6], v[5:6], v[9:10], v[14:15]
	s_delay_alu instid0(VALU_DEP_1)
	v_div_fixup_f64 v[3:4], v[5:6], v[3:4], 1.0
	ds_load_b64 v[5:6], v1
	v_cmpx_eq_u32_e32 0, v11
	s_cbranch_execz .LBB12_17
; %bb.16:
	s_wait_dscnt 0x0
	v_mul_f64_e32 v[1:2], v[5:6], v[3:4]
	v_add_co_u32 v9, vcc_lo, s6, v7
	s_wait_alu 0xfffd
	v_add_co_ci_u32_e64 v10, null, s7, v8, vcc_lo
	global_store_b64 v[9:10], v[1:2], off
.LBB12_17:
	s_wait_alu 0xfffe
	s_or_b32 exec_lo, exec_lo, s14
	s_and_saveexec_b32 s6, s0
	s_cbranch_execz .LBB12_20
; %bb.18:
	v_add_co_u32 v1, vcc_lo, s12, v7
	s_wait_alu 0xfffd
	v_add_co_ci_u32_e64 v2, null, s13, v8, vcc_lo
	s_mov_b32 s6, 0
	global_load_b64 v[7:8], v[1:2], off
	v_mul_f64_e32 v[1:2], v[3:4], v[3:4]
	s_delay_alu instid0(VALU_DEP_1)
	v_mul_f64_e32 v[9:10], v[3:4], v[1:2]
.LBB12_19:                              ; =>This Inner Loop Header: Depth=1
	v_ashrrev_i32_e32 v1, 31, v0
	v_add_nc_u32_e32 v11, s1, v11
	s_delay_alu instid0(VALU_DEP_2) | instskip(SKIP_1) | instid1(VALU_DEP_2)
	v_lshlrev_b64_e32 v[1:2], 3, v[0:1]
	v_add_nc_u32_e32 v0, s2, v0
	v_add_co_u32 v12, vcc_lo, s10, v1
	s_wait_alu 0xfffd
	s_delay_alu instid0(VALU_DEP_3)
	v_add_co_ci_u32_e64 v13, null, s11, v2, vcc_lo
	v_add_co_u32 v14, vcc_lo, s8, v1
	s_wait_alu 0xfffd
	v_add_co_ci_u32_e64 v15, null, s9, v2, vcc_lo
	global_load_b64 v[12:13], v[12:13], off
	v_cmp_le_i32_e32 vcc_lo, s3, v11
	v_add_co_u32 v1, s0, s4, v1
	global_load_b64 v[14:15], v[14:15], off
	s_wait_alu 0xf1ff
	v_add_co_ci_u32_e64 v2, null, s5, v2, s0
	s_wait_alu 0xfffe
	s_or_b32 s6, vcc_lo, s6
	s_wait_loadcnt 0x1
	v_mul_f64_e32 v[12:13], v[9:10], v[12:13]
	s_wait_dscnt 0x0
	s_delay_alu instid0(VALU_DEP_1) | instskip(SKIP_1) | instid1(VALU_DEP_1)
	v_mul_f64_e32 v[12:13], v[5:6], v[12:13]
	s_wait_loadcnt 0x0
	v_fma_f64 v[12:13], v[3:4], v[14:15], -v[12:13]
	s_delay_alu instid0(VALU_DEP_1)
	v_mul_f64_e32 v[12:13], v[7:8], v[12:13]
	global_store_b64 v[1:2], v[12:13], off
	s_wait_alu 0xfffe
	s_and_not1_b32 exec_lo, exec_lo, s6
	s_cbranch_execnz .LBB12_19
.LBB12_20:
	s_endpgm
.LBB12_21:                              ;   in Loop: Header=BB12_22 Depth=1
	s_or_b32 exec_lo, exec_lo, s19
	s_lshr_b32 s19, s17, 1
	s_cmp_lt_u32 s17, 0x80
	s_mov_b32 s17, s19
	s_wait_loadcnt_dscnt 0x0
	s_barrier_signal -1
	s_barrier_wait -1
	global_inv scope:SCOPE_SE
	s_cbranch_scc1 .LBB12_7
.LBB12_22:                              ; =>This Inner Loop Header: Depth=1
	s_mov_b32 s19, exec_lo
	s_wait_alu 0xfffe
	v_cmpx_gt_i32_e64 s17, v6
	s_cbranch_execz .LBB12_21
; %bb.23:                               ;   in Loop: Header=BB12_22 Depth=1
	v_lshl_add_u32 v9, s17, 3, v1
	ds_load_b64 v[7:8], v1
	ds_load_b64 v[9:10], v9
	s_wait_dscnt 0x0
	v_add_f64_e32 v[7:8], v[7:8], v[9:10]
	ds_store_b64 v1, v[7:8]
	s_branch .LBB12_21
	.section	.rodata,"a",@progbits
	.p2align	6, 0x0
	.amdhsa_kernel _ZN2at6native12_GLOBAL__N_131weight_norm_bwd_last_dim_kernelIddEEvPT_S4_PKS3_S6_S6_PKT0_ii
		.amdhsa_group_segment_fixed_size 0
		.amdhsa_private_segment_fixed_size 0
		.amdhsa_kernarg_size 312
		.amdhsa_user_sgpr_count 2
		.amdhsa_user_sgpr_dispatch_ptr 0
		.amdhsa_user_sgpr_queue_ptr 0
		.amdhsa_user_sgpr_kernarg_segment_ptr 1
		.amdhsa_user_sgpr_dispatch_id 0
		.amdhsa_user_sgpr_private_segment_size 0
		.amdhsa_wavefront_size32 1
		.amdhsa_uses_dynamic_stack 0
		.amdhsa_enable_private_segment 0
		.amdhsa_system_sgpr_workgroup_id_x 1
		.amdhsa_system_sgpr_workgroup_id_y 0
		.amdhsa_system_sgpr_workgroup_id_z 0
		.amdhsa_system_sgpr_workgroup_info 0
		.amdhsa_system_vgpr_workitem_id 1
		.amdhsa_next_free_vgpr 16
		.amdhsa_next_free_sgpr 20
		.amdhsa_reserve_vcc 1
		.amdhsa_float_round_mode_32 0
		.amdhsa_float_round_mode_16_64 0
		.amdhsa_float_denorm_mode_32 3
		.amdhsa_float_denorm_mode_16_64 3
		.amdhsa_fp16_overflow 0
		.amdhsa_workgroup_processor_mode 1
		.amdhsa_memory_ordered 1
		.amdhsa_forward_progress 1
		.amdhsa_inst_pref_size 9
		.amdhsa_round_robin_scheduling 0
		.amdhsa_exception_fp_ieee_invalid_op 0
		.amdhsa_exception_fp_denorm_src 0
		.amdhsa_exception_fp_ieee_div_zero 0
		.amdhsa_exception_fp_ieee_overflow 0
		.amdhsa_exception_fp_ieee_underflow 0
		.amdhsa_exception_fp_ieee_inexact 0
		.amdhsa_exception_int_div_zero 0
	.end_amdhsa_kernel
	.section	.text._ZN2at6native12_GLOBAL__N_131weight_norm_bwd_last_dim_kernelIddEEvPT_S4_PKS3_S6_S6_PKT0_ii,"axG",@progbits,_ZN2at6native12_GLOBAL__N_131weight_norm_bwd_last_dim_kernelIddEEvPT_S4_PKS3_S6_S6_PKT0_ii,comdat
.Lfunc_end12:
	.size	_ZN2at6native12_GLOBAL__N_131weight_norm_bwd_last_dim_kernelIddEEvPT_S4_PKS3_S6_S6_PKT0_ii, .Lfunc_end12-_ZN2at6native12_GLOBAL__N_131weight_norm_bwd_last_dim_kernelIddEEvPT_S4_PKS3_S6_S6_PKT0_ii
                                        ; -- End function
	.set _ZN2at6native12_GLOBAL__N_131weight_norm_bwd_last_dim_kernelIddEEvPT_S4_PKS3_S6_S6_PKT0_ii.num_vgpr, 16
	.set _ZN2at6native12_GLOBAL__N_131weight_norm_bwd_last_dim_kernelIddEEvPT_S4_PKS3_S6_S6_PKT0_ii.num_agpr, 0
	.set _ZN2at6native12_GLOBAL__N_131weight_norm_bwd_last_dim_kernelIddEEvPT_S4_PKS3_S6_S6_PKT0_ii.numbered_sgpr, 20
	.set _ZN2at6native12_GLOBAL__N_131weight_norm_bwd_last_dim_kernelIddEEvPT_S4_PKS3_S6_S6_PKT0_ii.num_named_barrier, 0
	.set _ZN2at6native12_GLOBAL__N_131weight_norm_bwd_last_dim_kernelIddEEvPT_S4_PKS3_S6_S6_PKT0_ii.private_seg_size, 0
	.set _ZN2at6native12_GLOBAL__N_131weight_norm_bwd_last_dim_kernelIddEEvPT_S4_PKS3_S6_S6_PKT0_ii.uses_vcc, 1
	.set _ZN2at6native12_GLOBAL__N_131weight_norm_bwd_last_dim_kernelIddEEvPT_S4_PKS3_S6_S6_PKT0_ii.uses_flat_scratch, 0
	.set _ZN2at6native12_GLOBAL__N_131weight_norm_bwd_last_dim_kernelIddEEvPT_S4_PKS3_S6_S6_PKT0_ii.has_dyn_sized_stack, 0
	.set _ZN2at6native12_GLOBAL__N_131weight_norm_bwd_last_dim_kernelIddEEvPT_S4_PKS3_S6_S6_PKT0_ii.has_recursion, 0
	.set _ZN2at6native12_GLOBAL__N_131weight_norm_bwd_last_dim_kernelIddEEvPT_S4_PKS3_S6_S6_PKT0_ii.has_indirect_call, 0
	.section	.AMDGPU.csdata,"",@progbits
; Kernel info:
; codeLenInByte = 1148
; TotalNumSgprs: 22
; NumVgprs: 16
; ScratchSize: 0
; MemoryBound: 0
; FloatMode: 240
; IeeeMode: 1
; LDSByteSize: 0 bytes/workgroup (compile time only)
; SGPRBlocks: 0
; VGPRBlocks: 1
; NumSGPRsForWavesPerEU: 22
; NumVGPRsForWavesPerEU: 16
; Occupancy: 16
; WaveLimiterHint : 0
; COMPUTE_PGM_RSRC2:SCRATCH_EN: 0
; COMPUTE_PGM_RSRC2:USER_SGPR: 2
; COMPUTE_PGM_RSRC2:TRAP_HANDLER: 0
; COMPUTE_PGM_RSRC2:TGID_X_EN: 1
; COMPUTE_PGM_RSRC2:TGID_Y_EN: 0
; COMPUTE_PGM_RSRC2:TGID_Z_EN: 0
; COMPUTE_PGM_RSRC2:TIDIG_COMP_CNT: 1
	.section	.text._ZN2at6native12_GLOBAL__N_131weight_norm_bwd_last_dim_kernelIffEEvPT_S4_PKS3_S6_S6_PKT0_ii,"axG",@progbits,_ZN2at6native12_GLOBAL__N_131weight_norm_bwd_last_dim_kernelIffEEvPT_S4_PKS3_S6_S6_PKT0_ii,comdat
	.globl	_ZN2at6native12_GLOBAL__N_131weight_norm_bwd_last_dim_kernelIffEEvPT_S4_PKS3_S6_S6_PKT0_ii ; -- Begin function _ZN2at6native12_GLOBAL__N_131weight_norm_bwd_last_dim_kernelIffEEvPT_S4_PKS3_S6_S6_PKT0_ii
	.p2align	8
	.type	_ZN2at6native12_GLOBAL__N_131weight_norm_bwd_last_dim_kernelIffEEvPT_S4_PKS3_S6_S6_PKT0_ii,@function
_ZN2at6native12_GLOBAL__N_131weight_norm_bwd_last_dim_kernelIffEEvPT_S4_PKS3_S6_S6_PKT0_ii: ; @_ZN2at6native12_GLOBAL__N_131weight_norm_bwd_last_dim_kernelIffEEvPT_S4_PKS3_S6_S6_PKT0_ii
; %bb.0:
	s_clause 0x1
	s_load_b32 s17, s[0:1], 0x44
	s_load_b64 s[2:3], s[0:1], 0x30
	v_and_b32_e32 v2, 0x3ff, v0
	s_clause 0x1
	s_load_b128 s[12:15], s[0:1], 0x20
	s_load_b256 s[4:11], s[0:1], 0x0
	v_bfe_u32 v6, v0, 10, 10
	s_wait_kmcnt 0x0
	s_and_b32 s16, s17, 0xffff
	s_delay_alu instid0(VALU_DEP_1)
	v_cmp_gt_i32_e64 s0, s3, v6
	v_mad_co_u64_u32 v[3:4], null, ttmp9, s16, v[2:3]
	s_lshr_b32 s1, s17, 16
	v_mad_co_u64_u32 v[0:1], null, s2, v6, v[3:4]
	v_cmp_gt_i32_e32 vcc_lo, s2, v3
	v_mov_b32_e32 v1, 0
	s_wait_alu 0xfffe
	s_mul_i32 s2, s2, s1
	s_and_b32 s0, vcc_lo, s0
	s_wait_alu 0xfffe
	s_and_saveexec_b32 s17, s0
	s_cbranch_execz .LBB13_4
; %bb.1:
	v_dual_mov_b32 v1, 0 :: v_dual_mov_b32 v4, v0
	v_mov_b32_e32 v7, v6
	s_mov_b32 s18, 0
.LBB13_2:                               ; =>This Inner Loop Header: Depth=1
	s_delay_alu instid0(VALU_DEP_2) | instskip(NEXT) | instid1(VALU_DEP_2)
	v_ashrrev_i32_e32 v5, 31, v4
	v_add_nc_u32_e32 v7, s1, v7
	s_delay_alu instid0(VALU_DEP_2) | instskip(SKIP_1) | instid1(VALU_DEP_2)
	v_lshlrev_b64_e32 v[8:9], 2, v[4:5]
	v_add_nc_u32_e32 v4, s2, v4
	v_add_co_u32 v10, vcc_lo, s8, v8
	s_wait_alu 0xfffd
	s_delay_alu instid0(VALU_DEP_3)
	v_add_co_ci_u32_e64 v11, null, s9, v9, vcc_lo
	v_add_co_u32 v8, vcc_lo, s10, v8
	s_wait_alu 0xfffd
	v_add_co_ci_u32_e64 v9, null, s11, v9, vcc_lo
	global_load_b32 v5, v[10:11], off
	global_load_b32 v8, v[8:9], off
	v_cmp_le_i32_e32 vcc_lo, s3, v7
	s_or_b32 s18, vcc_lo, s18
	s_wait_loadcnt 0x0
	v_fmac_f32_e32 v1, v5, v8
	s_and_not1_b32 exec_lo, exec_lo, s18
	s_cbranch_execnz .LBB13_2
; %bb.3:
	s_or_b32 exec_lo, exec_lo, s18
.LBB13_4:
	s_wait_alu 0xfffe
	s_or_b32 exec_lo, exec_lo, s17
	v_mad_u32_u24 v5, v6, s16, v2
	s_mul_i32 s17, s1, s16
	s_wait_alu 0xfffe
	s_cmp_gt_i32 s17, 63
	s_cselect_b32 s18, -1, 0
	v_lshl_add_u32 v4, v5, 2, 0
	s_cmp_lt_i32 s17, 64
	s_cbranch_scc1 .LBB13_6
; %bb.5:
	ds_store_b32 v4, v1
	s_wait_dscnt 0x0
	s_barrier_signal -1
	s_barrier_wait -1
	global_inv scope:SCOPE_SE
.LBB13_6:
	s_ashr_i32 s17, s17, 1
	s_wait_alu 0xfffe
	s_cmp_lt_i32 s17, 64
	s_cbranch_scc0 .LBB13_22
.LBB13_7:
	s_mov_b32 s17, exec_lo
	v_cmpx_gt_u32_e32 32, v5
	s_cbranch_execz .LBB13_15
; %bb.8:
	s_and_not1_b32 vcc_lo, exec_lo, s18
	s_wait_alu 0xfffe
	s_cbranch_vccnz .LBB13_10
; %bb.9:
	ds_load_2addr_b32 v[7:8], v4 offset1:32
	s_wait_dscnt 0x0
	v_add_f32_e32 v1, v7, v8
.LBB13_10:
	s_cmp_gt_u32 s16, 16
	s_mov_b32 s18, 16
	s_cbranch_scc1 .LBB13_13
; %bb.11:
	v_mbcnt_lo_u32_b32 v7, -1, 0
	s_delay_alu instid0(VALU_DEP_1)
	v_sub_nc_u32_e32 v8, 32, v7
.LBB13_12:                              ; =>This Inner Loop Header: Depth=1
	s_delay_alu instid0(VALU_DEP_1)
	v_cmp_lt_u32_e32 vcc_lo, s18, v8
	s_wait_alu 0xfffd
	v_cndmask_b32_e64 v9, 0, s18, vcc_lo
	s_lshr_b32 s18, s18, 1
	s_wait_alu 0xfffe
	s_cmp_lt_u32 s18, s16
	s_delay_alu instid0(VALU_DEP_1)
	v_add_lshl_u32 v9, v9, v7, 2
	ds_bpermute_b32 v9, v9, v1
	s_wait_dscnt 0x0
	v_add_f32_e32 v1, v1, v9
	s_cbranch_scc0 .LBB13_12
.LBB13_13:
	v_cmp_gt_u32_e32 vcc_lo, s16, v5
	s_and_b32 exec_lo, exec_lo, vcc_lo
; %bb.14:
	ds_store_b32 v4, v1
.LBB13_15:
	s_wait_alu 0xfffe
	s_or_b32 exec_lo, exec_lo, s17
	v_ashrrev_i32_e32 v4, 31, v3
	s_wait_loadcnt_dscnt 0x0
	s_barrier_signal -1
	s_barrier_wait -1
	global_inv scope:SCOPE_SE
	v_lshlrev_b64_e32 v[3:4], 2, v[3:4]
	v_lshl_add_u32 v2, v2, 2, 0
	ds_load_b32 v2, v2
	v_add_co_u32 v7, vcc_lo, s14, v3
	s_wait_alu 0xfffd
	v_add_co_ci_u32_e64 v8, null, s15, v4, vcc_lo
	s_mov_b32 s14, exec_lo
	global_load_b32 v1, v[7:8], off
	s_wait_loadcnt 0x0
	v_div_scale_f32 v5, null, v1, v1, 1.0
	v_div_scale_f32 v9, vcc_lo, 1.0, v1, 1.0
	s_delay_alu instid0(VALU_DEP_2) | instskip(NEXT) | instid1(TRANS32_DEP_1)
	v_rcp_f32_e32 v7, v5
	v_fma_f32 v8, -v5, v7, 1.0
	s_delay_alu instid0(VALU_DEP_1) | instskip(NEXT) | instid1(VALU_DEP_1)
	v_fmac_f32_e32 v7, v8, v7
	v_mul_f32_e32 v8, v9, v7
	s_delay_alu instid0(VALU_DEP_1) | instskip(NEXT) | instid1(VALU_DEP_1)
	v_fma_f32 v10, -v5, v8, v9
	v_fmac_f32_e32 v8, v10, v7
	s_delay_alu instid0(VALU_DEP_1) | instskip(SKIP_1) | instid1(VALU_DEP_1)
	v_fma_f32 v5, -v5, v8, v9
	s_wait_alu 0xfffd
	v_div_fmas_f32 v5, v5, v7, v8
	s_delay_alu instid0(VALU_DEP_1)
	v_div_fixup_f32 v5, v5, v1, 1.0
	v_cmpx_eq_u32_e32 0, v6
	s_cbranch_execz .LBB13_17
; %bb.16:
	v_add_co_u32 v7, vcc_lo, s6, v3
	s_wait_alu 0xfffd
	v_add_co_ci_u32_e64 v8, null, s7, v4, vcc_lo
	s_wait_dscnt 0x0
	v_mul_f32_e32 v1, v2, v5
	global_store_b32 v[7:8], v1, off
.LBB13_17:
	s_wait_alu 0xfffe
	s_or_b32 exec_lo, exec_lo, s14
	s_and_saveexec_b32 s6, s0
	s_cbranch_execz .LBB13_20
; %bb.18:
	v_add_co_u32 v3, vcc_lo, s12, v3
	s_wait_alu 0xfffd
	v_add_co_ci_u32_e64 v4, null, s13, v4, vcc_lo
	v_mul_f32_e32 v1, v5, v5
	s_mov_b32 s6, 0
	global_load_b32 v3, v[3:4], off
	v_mul_f32_e32 v4, v5, v1
.LBB13_19:                              ; =>This Inner Loop Header: Depth=1
	v_ashrrev_i32_e32 v1, 31, v0
	v_add_nc_u32_e32 v6, s1, v6
	s_delay_alu instid0(VALU_DEP_2) | instskip(SKIP_1) | instid1(VALU_DEP_2)
	v_lshlrev_b64_e32 v[7:8], 2, v[0:1]
	v_add_nc_u32_e32 v0, s2, v0
	v_add_co_u32 v9, vcc_lo, s10, v7
	s_wait_alu 0xfffd
	s_delay_alu instid0(VALU_DEP_3)
	v_add_co_ci_u32_e64 v10, null, s11, v8, vcc_lo
	global_load_b32 v1, v[9:10], off
	v_add_co_u32 v9, vcc_lo, s8, v7
	s_wait_alu 0xfffd
	v_add_co_ci_u32_e64 v10, null, s9, v8, vcc_lo
	v_cmp_le_i32_e32 vcc_lo, s3, v6
	v_add_co_u32 v7, s0, s4, v7
	global_load_b32 v9, v[9:10], off
	s_wait_alu 0xf1ff
	v_add_co_ci_u32_e64 v8, null, s5, v8, s0
	s_wait_alu 0xfffe
	s_or_b32 s6, vcc_lo, s6
	s_wait_loadcnt 0x1
	v_mul_f32_e32 v1, v4, v1
	s_wait_dscnt 0x0
	s_delay_alu instid0(VALU_DEP_1) | instskip(SKIP_1) | instid1(VALU_DEP_1)
	v_mul_f32_e32 v1, v2, v1
	s_wait_loadcnt 0x0
	v_fma_f32 v1, v5, v9, -v1
	s_delay_alu instid0(VALU_DEP_1)
	v_mul_f32_e32 v1, v3, v1
	global_store_b32 v[7:8], v1, off
	s_wait_alu 0xfffe
	s_and_not1_b32 exec_lo, exec_lo, s6
	s_cbranch_execnz .LBB13_19
.LBB13_20:
	s_endpgm
.LBB13_21:                              ;   in Loop: Header=BB13_22 Depth=1
	s_or_b32 exec_lo, exec_lo, s19
	s_lshr_b32 s19, s17, 1
	s_cmp_lt_u32 s17, 0x80
	s_mov_b32 s17, s19
	s_wait_loadcnt_dscnt 0x0
	s_barrier_signal -1
	s_barrier_wait -1
	global_inv scope:SCOPE_SE
	s_cbranch_scc1 .LBB13_7
.LBB13_22:                              ; =>This Inner Loop Header: Depth=1
	s_mov_b32 s19, exec_lo
	s_wait_alu 0xfffe
	v_cmpx_gt_i32_e64 s17, v5
	s_cbranch_execz .LBB13_21
; %bb.23:                               ;   in Loop: Header=BB13_22 Depth=1
	v_lshl_add_u32 v7, s17, 2, v4
	ds_load_b32 v8, v4
	ds_load_b32 v7, v7
	s_wait_dscnt 0x0
	v_add_f32_e32 v7, v8, v7
	ds_store_b32 v4, v7
	s_branch .LBB13_21
	.section	.rodata,"a",@progbits
	.p2align	6, 0x0
	.amdhsa_kernel _ZN2at6native12_GLOBAL__N_131weight_norm_bwd_last_dim_kernelIffEEvPT_S4_PKS3_S6_S6_PKT0_ii
		.amdhsa_group_segment_fixed_size 0
		.amdhsa_private_segment_fixed_size 0
		.amdhsa_kernarg_size 312
		.amdhsa_user_sgpr_count 2
		.amdhsa_user_sgpr_dispatch_ptr 0
		.amdhsa_user_sgpr_queue_ptr 0
		.amdhsa_user_sgpr_kernarg_segment_ptr 1
		.amdhsa_user_sgpr_dispatch_id 0
		.amdhsa_user_sgpr_private_segment_size 0
		.amdhsa_wavefront_size32 1
		.amdhsa_uses_dynamic_stack 0
		.amdhsa_enable_private_segment 0
		.amdhsa_system_sgpr_workgroup_id_x 1
		.amdhsa_system_sgpr_workgroup_id_y 0
		.amdhsa_system_sgpr_workgroup_id_z 0
		.amdhsa_system_sgpr_workgroup_info 0
		.amdhsa_system_vgpr_workitem_id 1
		.amdhsa_next_free_vgpr 12
		.amdhsa_next_free_sgpr 20
		.amdhsa_reserve_vcc 1
		.amdhsa_float_round_mode_32 0
		.amdhsa_float_round_mode_16_64 0
		.amdhsa_float_denorm_mode_32 3
		.amdhsa_float_denorm_mode_16_64 3
		.amdhsa_fp16_overflow 0
		.amdhsa_workgroup_processor_mode 1
		.amdhsa_memory_ordered 1
		.amdhsa_forward_progress 1
		.amdhsa_inst_pref_size 9
		.amdhsa_round_robin_scheduling 0
		.amdhsa_exception_fp_ieee_invalid_op 0
		.amdhsa_exception_fp_denorm_src 0
		.amdhsa_exception_fp_ieee_div_zero 0
		.amdhsa_exception_fp_ieee_overflow 0
		.amdhsa_exception_fp_ieee_underflow 0
		.amdhsa_exception_fp_ieee_inexact 0
		.amdhsa_exception_int_div_zero 0
	.end_amdhsa_kernel
	.section	.text._ZN2at6native12_GLOBAL__N_131weight_norm_bwd_last_dim_kernelIffEEvPT_S4_PKS3_S6_S6_PKT0_ii,"axG",@progbits,_ZN2at6native12_GLOBAL__N_131weight_norm_bwd_last_dim_kernelIffEEvPT_S4_PKS3_S6_S6_PKT0_ii,comdat
.Lfunc_end13:
	.size	_ZN2at6native12_GLOBAL__N_131weight_norm_bwd_last_dim_kernelIffEEvPT_S4_PKS3_S6_S6_PKT0_ii, .Lfunc_end13-_ZN2at6native12_GLOBAL__N_131weight_norm_bwd_last_dim_kernelIffEEvPT_S4_PKS3_S6_S6_PKT0_ii
                                        ; -- End function
	.set _ZN2at6native12_GLOBAL__N_131weight_norm_bwd_last_dim_kernelIffEEvPT_S4_PKS3_S6_S6_PKT0_ii.num_vgpr, 12
	.set _ZN2at6native12_GLOBAL__N_131weight_norm_bwd_last_dim_kernelIffEEvPT_S4_PKS3_S6_S6_PKT0_ii.num_agpr, 0
	.set _ZN2at6native12_GLOBAL__N_131weight_norm_bwd_last_dim_kernelIffEEvPT_S4_PKS3_S6_S6_PKT0_ii.numbered_sgpr, 20
	.set _ZN2at6native12_GLOBAL__N_131weight_norm_bwd_last_dim_kernelIffEEvPT_S4_PKS3_S6_S6_PKT0_ii.num_named_barrier, 0
	.set _ZN2at6native12_GLOBAL__N_131weight_norm_bwd_last_dim_kernelIffEEvPT_S4_PKS3_S6_S6_PKT0_ii.private_seg_size, 0
	.set _ZN2at6native12_GLOBAL__N_131weight_norm_bwd_last_dim_kernelIffEEvPT_S4_PKS3_S6_S6_PKT0_ii.uses_vcc, 1
	.set _ZN2at6native12_GLOBAL__N_131weight_norm_bwd_last_dim_kernelIffEEvPT_S4_PKS3_S6_S6_PKT0_ii.uses_flat_scratch, 0
	.set _ZN2at6native12_GLOBAL__N_131weight_norm_bwd_last_dim_kernelIffEEvPT_S4_PKS3_S6_S6_PKT0_ii.has_dyn_sized_stack, 0
	.set _ZN2at6native12_GLOBAL__N_131weight_norm_bwd_last_dim_kernelIffEEvPT_S4_PKS3_S6_S6_PKT0_ii.has_recursion, 0
	.set _ZN2at6native12_GLOBAL__N_131weight_norm_bwd_last_dim_kernelIffEEvPT_S4_PKS3_S6_S6_PKT0_ii.has_indirect_call, 0
	.section	.AMDGPU.csdata,"",@progbits
; Kernel info:
; codeLenInByte = 1112
; TotalNumSgprs: 22
; NumVgprs: 12
; ScratchSize: 0
; MemoryBound: 0
; FloatMode: 240
; IeeeMode: 1
; LDSByteSize: 0 bytes/workgroup (compile time only)
; SGPRBlocks: 0
; VGPRBlocks: 1
; NumSGPRsForWavesPerEU: 22
; NumVGPRsForWavesPerEU: 12
; Occupancy: 16
; WaveLimiterHint : 0
; COMPUTE_PGM_RSRC2:SCRATCH_EN: 0
; COMPUTE_PGM_RSRC2:USER_SGPR: 2
; COMPUTE_PGM_RSRC2:TRAP_HANDLER: 0
; COMPUTE_PGM_RSRC2:TGID_X_EN: 1
; COMPUTE_PGM_RSRC2:TGID_Y_EN: 0
; COMPUTE_PGM_RSRC2:TGID_Z_EN: 0
; COMPUTE_PGM_RSRC2:TIDIG_COMP_CNT: 1
	.section	.text._ZN2at6native12_GLOBAL__N_131weight_norm_bwd_last_dim_kernelIN3c108BFloat16EfEEvPT_S6_PKS5_S8_S8_PKT0_ii,"axG",@progbits,_ZN2at6native12_GLOBAL__N_131weight_norm_bwd_last_dim_kernelIN3c108BFloat16EfEEvPT_S6_PKS5_S8_S8_PKT0_ii,comdat
	.globl	_ZN2at6native12_GLOBAL__N_131weight_norm_bwd_last_dim_kernelIN3c108BFloat16EfEEvPT_S6_PKS5_S8_S8_PKT0_ii ; -- Begin function _ZN2at6native12_GLOBAL__N_131weight_norm_bwd_last_dim_kernelIN3c108BFloat16EfEEvPT_S6_PKS5_S8_S8_PKT0_ii
	.p2align	8
	.type	_ZN2at6native12_GLOBAL__N_131weight_norm_bwd_last_dim_kernelIN3c108BFloat16EfEEvPT_S6_PKS5_S8_S8_PKT0_ii,@function
_ZN2at6native12_GLOBAL__N_131weight_norm_bwd_last_dim_kernelIN3c108BFloat16EfEEvPT_S6_PKS5_S8_S8_PKT0_ii: ; @_ZN2at6native12_GLOBAL__N_131weight_norm_bwd_last_dim_kernelIN3c108BFloat16EfEEvPT_S6_PKS5_S8_S8_PKT0_ii
; %bb.0:
	s_clause 0x1
	s_load_b32 s17, s[0:1], 0x44
	s_load_b64 s[2:3], s[0:1], 0x30
	v_and_b32_e32 v4, 0x3ff, v0
	s_clause 0x1
	s_load_b128 s[12:15], s[0:1], 0x20
	s_load_b256 s[4:11], s[0:1], 0x0
	v_bfe_u32 v7, v0, 10, 10
	s_wait_kmcnt 0x0
	s_and_b32 s16, s17, 0xffff
	s_delay_alu instid0(VALU_DEP_1)
	v_cmp_gt_i32_e64 s0, s3, v7
	v_mad_co_u64_u32 v[2:3], null, ttmp9, s16, v[4:5]
	s_lshr_b32 s1, s17, 16
	v_mad_co_u64_u32 v[0:1], null, s2, v7, v[2:3]
	v_cmp_gt_i32_e32 vcc_lo, s2, v2
	v_mov_b32_e32 v1, 0
	s_wait_alu 0xfffe
	s_mul_i32 s2, s2, s1
	s_and_b32 s0, vcc_lo, s0
	s_wait_alu 0xfffe
	s_and_saveexec_b32 s17, s0
	s_cbranch_execz .LBB14_4
; %bb.1:
	v_mov_b32_e32 v1, 0
	v_mov_b32_e32 v5, v0
	v_mov_b32_e32 v3, v7
	s_mov_b32 s18, 0
.LBB14_2:                               ; =>This Inner Loop Header: Depth=1
	s_delay_alu instid0(VALU_DEP_2) | instskip(NEXT) | instid1(VALU_DEP_2)
	v_ashrrev_i32_e32 v6, 31, v5
	v_add_nc_u32_e32 v3, s1, v3
	s_delay_alu instid0(VALU_DEP_2) | instskip(SKIP_1) | instid1(VALU_DEP_2)
	v_lshlrev_b64_e32 v[8:9], 1, v[5:6]
	v_add_nc_u32_e32 v5, s2, v5
	v_add_co_u32 v10, vcc_lo, s10, v8
	s_wait_alu 0xfffd
	s_delay_alu instid0(VALU_DEP_3)
	v_add_co_ci_u32_e64 v11, null, s11, v9, vcc_lo
	v_add_co_u32 v8, vcc_lo, s8, v8
	s_wait_alu 0xfffd
	v_add_co_ci_u32_e64 v9, null, s9, v9, vcc_lo
	global_load_u16 v6, v[10:11], off
	global_load_u16 v8, v[8:9], off
	v_cmp_le_i32_e32 vcc_lo, s3, v3
	s_or_b32 s18, vcc_lo, s18
	s_wait_loadcnt 0x1
	v_lshlrev_b32_e32 v6, 16, v6
	s_wait_loadcnt 0x0
	v_lshlrev_b32_e32 v8, 16, v8
	s_delay_alu instid0(VALU_DEP_1)
	v_fmac_f32_e32 v1, v8, v6
	s_and_not1_b32 exec_lo, exec_lo, s18
	s_cbranch_execnz .LBB14_2
; %bb.3:
	s_or_b32 exec_lo, exec_lo, s18
.LBB14_4:
	s_wait_alu 0xfffe
	s_or_b32 exec_lo, exec_lo, s17
	v_mad_u32_u24 v5, v7, s16, v4
	s_mul_i32 s17, s1, s16
	s_wait_alu 0xfffe
	s_cmp_gt_i32 s17, 63
	s_cselect_b32 s18, -1, 0
	v_lshl_add_u32 v3, v5, 2, 0
	s_cmp_lt_i32 s17, 64
	s_cbranch_scc1 .LBB14_6
; %bb.5:
	ds_store_b32 v3, v1
	s_wait_dscnt 0x0
	s_barrier_signal -1
	s_barrier_wait -1
	global_inv scope:SCOPE_SE
.LBB14_6:
	s_ashr_i32 s17, s17, 1
	s_wait_alu 0xfffe
	s_cmp_lt_i32 s17, 64
	s_cbranch_scc0 .LBB14_22
.LBB14_7:
	s_mov_b32 s17, exec_lo
	v_cmpx_gt_u32_e32 32, v5
	s_cbranch_execz .LBB14_15
; %bb.8:
	s_and_not1_b32 vcc_lo, exec_lo, s18
	s_wait_alu 0xfffe
	s_cbranch_vccnz .LBB14_10
; %bb.9:
	ds_load_2addr_b32 v[8:9], v3 offset1:32
	s_wait_dscnt 0x0
	v_add_f32_e32 v1, v8, v9
.LBB14_10:
	s_cmp_gt_u32 s16, 16
	s_mov_b32 s18, 16
	s_cbranch_scc1 .LBB14_13
; %bb.11:
	v_mbcnt_lo_u32_b32 v6, -1, 0
	s_delay_alu instid0(VALU_DEP_1)
	v_sub_nc_u32_e32 v8, 32, v6
.LBB14_12:                              ; =>This Inner Loop Header: Depth=1
	s_delay_alu instid0(VALU_DEP_1)
	v_cmp_lt_u32_e32 vcc_lo, s18, v8
	s_wait_alu 0xfffd
	v_cndmask_b32_e64 v9, 0, s18, vcc_lo
	s_lshr_b32 s18, s18, 1
	s_wait_alu 0xfffe
	s_cmp_lt_u32 s18, s16
	s_delay_alu instid0(VALU_DEP_1)
	v_add_lshl_u32 v9, v9, v6, 2
	ds_bpermute_b32 v9, v9, v1
	s_wait_dscnt 0x0
	v_add_f32_e32 v1, v1, v9
	s_cbranch_scc0 .LBB14_12
.LBB14_13:
	v_cmp_gt_u32_e32 vcc_lo, s16, v5
	s_and_b32 exec_lo, exec_lo, vcc_lo
; %bb.14:
	ds_store_b32 v3, v1
.LBB14_15:
	s_wait_alu 0xfffe
	s_or_b32 exec_lo, exec_lo, s17
	v_ashrrev_i32_e32 v3, 31, v2
	s_wait_loadcnt_dscnt 0x0
	s_barrier_signal -1
	s_barrier_wait -1
	global_inv scope:SCOPE_SE
	v_lshlrev_b64_e32 v[5:6], 2, v[2:3]
	v_lshl_add_u32 v4, v4, 2, 0
	ds_load_b32 v4, v4
	v_add_co_u32 v5, vcc_lo, s14, v5
	s_wait_alu 0xfffd
	v_add_co_ci_u32_e64 v6, null, s15, v6, vcc_lo
	s_mov_b32 s14, exec_lo
	global_load_b32 v5, v[5:6], off
	s_wait_loadcnt 0x0
	v_div_scale_f32 v1, null, v5, v5, 1.0
	v_div_scale_f32 v9, vcc_lo, 1.0, v5, 1.0
	s_delay_alu instid0(VALU_DEP_2) | instskip(NEXT) | instid1(TRANS32_DEP_1)
	v_rcp_f32_e32 v6, v1
	v_fma_f32 v8, -v1, v6, 1.0
	s_delay_alu instid0(VALU_DEP_1) | instskip(NEXT) | instid1(VALU_DEP_1)
	v_fmac_f32_e32 v6, v8, v6
	v_mul_f32_e32 v8, v9, v6
	s_delay_alu instid0(VALU_DEP_1) | instskip(NEXT) | instid1(VALU_DEP_1)
	v_fma_f32 v10, -v1, v8, v9
	v_fmac_f32_e32 v8, v10, v6
	s_delay_alu instid0(VALU_DEP_1) | instskip(SKIP_1) | instid1(VALU_DEP_1)
	v_fma_f32 v1, -v1, v8, v9
	s_wait_alu 0xfffd
	v_div_fmas_f32 v6, v1, v6, v8
	v_lshlrev_b64_e32 v[1:2], 1, v[2:3]
	s_delay_alu instid0(VALU_DEP_2)
	v_div_fixup_f32 v3, v6, v5, 1.0
	v_cmpx_eq_u32_e32 0, v7
	s_cbranch_execz .LBB14_17
; %bb.16:
	s_wait_dscnt 0x0
	s_delay_alu instid0(VALU_DEP_2) | instskip(NEXT) | instid1(VALU_DEP_1)
	v_mul_f32_e32 v5, v4, v3
	v_bfe_u32 v6, v5, 16, 1
	v_cmp_o_f32_e32 vcc_lo, v5, v5
	s_delay_alu instid0(VALU_DEP_2) | instskip(NEXT) | instid1(VALU_DEP_1)
	v_add3_u32 v6, v5, v6, 0x7fff
	v_lshrrev_b32_e32 v6, 16, v6
	s_wait_alu 0xfffd
	s_delay_alu instid0(VALU_DEP_1)
	v_cndmask_b32_e32 v8, 0x7fc0, v6, vcc_lo
	v_add_co_u32 v5, vcc_lo, s6, v1
	s_wait_alu 0xfffd
	v_add_co_ci_u32_e64 v6, null, s7, v2, vcc_lo
	global_store_b16 v[5:6], v8, off
.LBB14_17:
	s_wait_alu 0xfffe
	s_or_b32 exec_lo, exec_lo, s14
	s_and_saveexec_b32 s6, s0
	s_cbranch_execz .LBB14_20
; %bb.18:
	v_add_co_u32 v1, vcc_lo, s12, v1
	s_wait_alu 0xfffd
	v_add_co_ci_u32_e64 v2, null, s13, v2, vcc_lo
	s_mov_b32 s6, 0
	global_load_u16 v1, v[1:2], off
	s_wait_loadcnt 0x0
	v_dual_mul_f32 v5, v3, v3 :: v_dual_lshlrev_b32 v2, 16, v1
	s_delay_alu instid0(VALU_DEP_1)
	v_mul_f32_e32 v5, v3, v5
.LBB14_19:                              ; =>This Inner Loop Header: Depth=1
	v_ashrrev_i32_e32 v1, 31, v0
	v_add_nc_u32_e32 v7, s1, v7
	s_delay_alu instid0(VALU_DEP_2) | instskip(SKIP_1) | instid1(VALU_DEP_2)
	v_lshlrev_b64_e32 v[8:9], 1, v[0:1]
	v_add_nc_u32_e32 v0, s2, v0
	v_add_co_u32 v10, vcc_lo, s8, v8
	s_wait_alu 0xfffd
	s_delay_alu instid0(VALU_DEP_3)
	v_add_co_ci_u32_e64 v11, null, s9, v9, vcc_lo
	v_add_co_u32 v12, vcc_lo, s10, v8
	s_wait_alu 0xfffd
	v_add_co_ci_u32_e64 v13, null, s11, v9, vcc_lo
	global_load_u16 v1, v[10:11], off
	global_load_u16 v6, v[12:13], off
	v_cmp_le_i32_e32 vcc_lo, s3, v7
	s_wait_alu 0xfffe
	s_or_b32 s6, vcc_lo, s6
	s_wait_loadcnt 0x0
	v_lshlrev_b32_e32 v6, 16, v6
	s_delay_alu instid0(VALU_DEP_1) | instskip(NEXT) | instid1(VALU_DEP_1)
	v_dual_mul_f32 v6, v5, v6 :: v_dual_lshlrev_b32 v1, 16, v1
	v_mul_f32_e32 v1, v3, v1
	s_wait_dscnt 0x0
	s_delay_alu instid0(VALU_DEP_1) | instskip(NEXT) | instid1(VALU_DEP_1)
	v_fma_f32 v1, -v4, v6, v1
	v_mul_f32_e32 v1, v1, v2
	s_delay_alu instid0(VALU_DEP_1) | instskip(SKIP_1) | instid1(VALU_DEP_2)
	v_bfe_u32 v6, v1, 16, 1
	v_cmp_o_f32_e64 s0, v1, v1
	v_add3_u32 v6, v1, v6, 0x7fff
	s_delay_alu instid0(VALU_DEP_1) | instskip(SKIP_1) | instid1(VALU_DEP_1)
	v_lshrrev_b32_e32 v6, 16, v6
	s_wait_alu 0xf1ff
	v_cndmask_b32_e64 v1, 0x7fc0, v6, s0
	v_add_co_u32 v8, s0, s4, v8
	s_wait_alu 0xf1ff
	v_add_co_ci_u32_e64 v9, null, s5, v9, s0
	global_store_b16 v[8:9], v1, off
	s_wait_alu 0xfffe
	s_and_not1_b32 exec_lo, exec_lo, s6
	s_cbranch_execnz .LBB14_19
.LBB14_20:
	s_endpgm
.LBB14_21:                              ;   in Loop: Header=BB14_22 Depth=1
	s_or_b32 exec_lo, exec_lo, s19
	s_lshr_b32 s19, s17, 1
	s_cmp_lt_u32 s17, 0x80
	s_mov_b32 s17, s19
	s_wait_loadcnt_dscnt 0x0
	s_barrier_signal -1
	s_barrier_wait -1
	global_inv scope:SCOPE_SE
	s_cbranch_scc1 .LBB14_7
.LBB14_22:                              ; =>This Inner Loop Header: Depth=1
	s_mov_b32 s19, exec_lo
	s_wait_alu 0xfffe
	v_cmpx_gt_i32_e64 s17, v5
	s_cbranch_execz .LBB14_21
; %bb.23:                               ;   in Loop: Header=BB14_22 Depth=1
	v_lshl_add_u32 v6, s17, 2, v3
	ds_load_b32 v8, v3
	ds_load_b32 v6, v6
	s_wait_dscnt 0x0
	v_add_f32_e32 v6, v8, v6
	ds_store_b32 v3, v6
	s_branch .LBB14_21
	.section	.rodata,"a",@progbits
	.p2align	6, 0x0
	.amdhsa_kernel _ZN2at6native12_GLOBAL__N_131weight_norm_bwd_last_dim_kernelIN3c108BFloat16EfEEvPT_S6_PKS5_S8_S8_PKT0_ii
		.amdhsa_group_segment_fixed_size 0
		.amdhsa_private_segment_fixed_size 0
		.amdhsa_kernarg_size 312
		.amdhsa_user_sgpr_count 2
		.amdhsa_user_sgpr_dispatch_ptr 0
		.amdhsa_user_sgpr_queue_ptr 0
		.amdhsa_user_sgpr_kernarg_segment_ptr 1
		.amdhsa_user_sgpr_dispatch_id 0
		.amdhsa_user_sgpr_private_segment_size 0
		.amdhsa_wavefront_size32 1
		.amdhsa_uses_dynamic_stack 0
		.amdhsa_enable_private_segment 0
		.amdhsa_system_sgpr_workgroup_id_x 1
		.amdhsa_system_sgpr_workgroup_id_y 0
		.amdhsa_system_sgpr_workgroup_id_z 0
		.amdhsa_system_sgpr_workgroup_info 0
		.amdhsa_system_vgpr_workitem_id 1
		.amdhsa_next_free_vgpr 14
		.amdhsa_next_free_sgpr 20
		.amdhsa_reserve_vcc 1
		.amdhsa_float_round_mode_32 0
		.amdhsa_float_round_mode_16_64 0
		.amdhsa_float_denorm_mode_32 3
		.amdhsa_float_denorm_mode_16_64 3
		.amdhsa_fp16_overflow 0
		.amdhsa_workgroup_processor_mode 1
		.amdhsa_memory_ordered 1
		.amdhsa_forward_progress 1
		.amdhsa_inst_pref_size 10
		.amdhsa_round_robin_scheduling 0
		.amdhsa_exception_fp_ieee_invalid_op 0
		.amdhsa_exception_fp_denorm_src 0
		.amdhsa_exception_fp_ieee_div_zero 0
		.amdhsa_exception_fp_ieee_overflow 0
		.amdhsa_exception_fp_ieee_underflow 0
		.amdhsa_exception_fp_ieee_inexact 0
		.amdhsa_exception_int_div_zero 0
	.end_amdhsa_kernel
	.section	.text._ZN2at6native12_GLOBAL__N_131weight_norm_bwd_last_dim_kernelIN3c108BFloat16EfEEvPT_S6_PKS5_S8_S8_PKT0_ii,"axG",@progbits,_ZN2at6native12_GLOBAL__N_131weight_norm_bwd_last_dim_kernelIN3c108BFloat16EfEEvPT_S6_PKS5_S8_S8_PKT0_ii,comdat
.Lfunc_end14:
	.size	_ZN2at6native12_GLOBAL__N_131weight_norm_bwd_last_dim_kernelIN3c108BFloat16EfEEvPT_S6_PKS5_S8_S8_PKT0_ii, .Lfunc_end14-_ZN2at6native12_GLOBAL__N_131weight_norm_bwd_last_dim_kernelIN3c108BFloat16EfEEvPT_S6_PKS5_S8_S8_PKT0_ii
                                        ; -- End function
	.set _ZN2at6native12_GLOBAL__N_131weight_norm_bwd_last_dim_kernelIN3c108BFloat16EfEEvPT_S6_PKS5_S8_S8_PKT0_ii.num_vgpr, 14
	.set _ZN2at6native12_GLOBAL__N_131weight_norm_bwd_last_dim_kernelIN3c108BFloat16EfEEvPT_S6_PKS5_S8_S8_PKT0_ii.num_agpr, 0
	.set _ZN2at6native12_GLOBAL__N_131weight_norm_bwd_last_dim_kernelIN3c108BFloat16EfEEvPT_S6_PKS5_S8_S8_PKT0_ii.numbered_sgpr, 20
	.set _ZN2at6native12_GLOBAL__N_131weight_norm_bwd_last_dim_kernelIN3c108BFloat16EfEEvPT_S6_PKS5_S8_S8_PKT0_ii.num_named_barrier, 0
	.set _ZN2at6native12_GLOBAL__N_131weight_norm_bwd_last_dim_kernelIN3c108BFloat16EfEEvPT_S6_PKS5_S8_S8_PKT0_ii.private_seg_size, 0
	.set _ZN2at6native12_GLOBAL__N_131weight_norm_bwd_last_dim_kernelIN3c108BFloat16EfEEvPT_S6_PKS5_S8_S8_PKT0_ii.uses_vcc, 1
	.set _ZN2at6native12_GLOBAL__N_131weight_norm_bwd_last_dim_kernelIN3c108BFloat16EfEEvPT_S6_PKS5_S8_S8_PKT0_ii.uses_flat_scratch, 0
	.set _ZN2at6native12_GLOBAL__N_131weight_norm_bwd_last_dim_kernelIN3c108BFloat16EfEEvPT_S6_PKS5_S8_S8_PKT0_ii.has_dyn_sized_stack, 0
	.set _ZN2at6native12_GLOBAL__N_131weight_norm_bwd_last_dim_kernelIN3c108BFloat16EfEEvPT_S6_PKS5_S8_S8_PKT0_ii.has_recursion, 0
	.set _ZN2at6native12_GLOBAL__N_131weight_norm_bwd_last_dim_kernelIN3c108BFloat16EfEEvPT_S6_PKS5_S8_S8_PKT0_ii.has_indirect_call, 0
	.section	.AMDGPU.csdata,"",@progbits
; Kernel info:
; codeLenInByte = 1256
; TotalNumSgprs: 22
; NumVgprs: 14
; ScratchSize: 0
; MemoryBound: 0
; FloatMode: 240
; IeeeMode: 1
; LDSByteSize: 0 bytes/workgroup (compile time only)
; SGPRBlocks: 0
; VGPRBlocks: 1
; NumSGPRsForWavesPerEU: 22
; NumVGPRsForWavesPerEU: 14
; Occupancy: 16
; WaveLimiterHint : 0
; COMPUTE_PGM_RSRC2:SCRATCH_EN: 0
; COMPUTE_PGM_RSRC2:USER_SGPR: 2
; COMPUTE_PGM_RSRC2:TRAP_HANDLER: 0
; COMPUTE_PGM_RSRC2:TGID_X_EN: 1
; COMPUTE_PGM_RSRC2:TGID_Y_EN: 0
; COMPUTE_PGM_RSRC2:TGID_Z_EN: 0
; COMPUTE_PGM_RSRC2:TIDIG_COMP_CNT: 1
	.section	.text._ZN2at6native12_GLOBAL__N_131weight_norm_bwd_last_dim_kernelIN3c104HalfEfEEvPT_S6_PKS5_S8_S8_PKT0_ii,"axG",@progbits,_ZN2at6native12_GLOBAL__N_131weight_norm_bwd_last_dim_kernelIN3c104HalfEfEEvPT_S6_PKS5_S8_S8_PKT0_ii,comdat
	.globl	_ZN2at6native12_GLOBAL__N_131weight_norm_bwd_last_dim_kernelIN3c104HalfEfEEvPT_S6_PKS5_S8_S8_PKT0_ii ; -- Begin function _ZN2at6native12_GLOBAL__N_131weight_norm_bwd_last_dim_kernelIN3c104HalfEfEEvPT_S6_PKS5_S8_S8_PKT0_ii
	.p2align	8
	.type	_ZN2at6native12_GLOBAL__N_131weight_norm_bwd_last_dim_kernelIN3c104HalfEfEEvPT_S6_PKS5_S8_S8_PKT0_ii,@function
_ZN2at6native12_GLOBAL__N_131weight_norm_bwd_last_dim_kernelIN3c104HalfEfEEvPT_S6_PKS5_S8_S8_PKT0_ii: ; @_ZN2at6native12_GLOBAL__N_131weight_norm_bwd_last_dim_kernelIN3c104HalfEfEEvPT_S6_PKS5_S8_S8_PKT0_ii
; %bb.0:
	s_clause 0x1
	s_load_b32 s17, s[0:1], 0x44
	s_load_b64 s[2:3], s[0:1], 0x30
	v_and_b32_e32 v4, 0x3ff, v0
	s_clause 0x1
	s_load_b128 s[12:15], s[0:1], 0x20
	s_load_b256 s[4:11], s[0:1], 0x0
	v_bfe_u32 v7, v0, 10, 10
	s_wait_kmcnt 0x0
	s_and_b32 s16, s17, 0xffff
	s_delay_alu instid0(VALU_DEP_1)
	v_cmp_gt_i32_e64 s0, s3, v7
	v_mad_co_u64_u32 v[2:3], null, ttmp9, s16, v[4:5]
	s_lshr_b32 s1, s17, 16
	v_mad_co_u64_u32 v[0:1], null, s2, v7, v[2:3]
	v_cmp_gt_i32_e32 vcc_lo, s2, v2
	v_mov_b32_e32 v1, 0
	s_wait_alu 0xfffe
	s_mul_i32 s2, s2, s1
	s_and_b32 s0, vcc_lo, s0
	s_wait_alu 0xfffe
	s_and_saveexec_b32 s17, s0
	s_cbranch_execz .LBB15_4
; %bb.1:
	v_mov_b32_e32 v1, 0
	v_mov_b32_e32 v5, v0
	v_mov_b32_e32 v3, v7
	s_mov_b32 s18, 0
.LBB15_2:                               ; =>This Inner Loop Header: Depth=1
	s_delay_alu instid0(VALU_DEP_2) | instskip(NEXT) | instid1(VALU_DEP_2)
	v_ashrrev_i32_e32 v6, 31, v5
	v_add_nc_u32_e32 v3, s1, v3
	s_delay_alu instid0(VALU_DEP_2) | instskip(SKIP_1) | instid1(VALU_DEP_2)
	v_lshlrev_b64_e32 v[8:9], 1, v[5:6]
	v_add_nc_u32_e32 v5, s2, v5
	v_add_co_u32 v10, vcc_lo, s8, v8
	s_wait_alu 0xfffd
	s_delay_alu instid0(VALU_DEP_3)
	v_add_co_ci_u32_e64 v11, null, s9, v9, vcc_lo
	v_add_co_u32 v8, vcc_lo, s10, v8
	s_wait_alu 0xfffd
	v_add_co_ci_u32_e64 v9, null, s11, v9, vcc_lo
	global_load_u16 v6, v[10:11], off
	global_load_u16 v8, v[8:9], off
	v_cmp_le_i32_e32 vcc_lo, s3, v3
	s_or_b32 s18, vcc_lo, s18
	s_wait_loadcnt 0x0
	v_fma_mix_f32 v1, v6, v8, v1 op_sel_hi:[1,1,0]
	s_and_not1_b32 exec_lo, exec_lo, s18
	s_cbranch_execnz .LBB15_2
; %bb.3:
	s_or_b32 exec_lo, exec_lo, s18
.LBB15_4:
	s_wait_alu 0xfffe
	s_or_b32 exec_lo, exec_lo, s17
	v_mad_u32_u24 v5, v7, s16, v4
	s_mul_i32 s17, s1, s16
	s_wait_alu 0xfffe
	s_cmp_gt_i32 s17, 63
	s_cselect_b32 s18, -1, 0
	v_lshl_add_u32 v3, v5, 2, 0
	s_cmp_lt_i32 s17, 64
	s_cbranch_scc1 .LBB15_6
; %bb.5:
	ds_store_b32 v3, v1
	s_wait_dscnt 0x0
	s_barrier_signal -1
	s_barrier_wait -1
	global_inv scope:SCOPE_SE
.LBB15_6:
	s_ashr_i32 s17, s17, 1
	s_wait_alu 0xfffe
	s_cmp_lt_i32 s17, 64
	s_cbranch_scc0 .LBB15_22
.LBB15_7:
	s_mov_b32 s17, exec_lo
	v_cmpx_gt_u32_e32 32, v5
	s_cbranch_execz .LBB15_15
; %bb.8:
	s_and_not1_b32 vcc_lo, exec_lo, s18
	s_wait_alu 0xfffe
	s_cbranch_vccnz .LBB15_10
; %bb.9:
	ds_load_2addr_b32 v[8:9], v3 offset1:32
	s_wait_dscnt 0x0
	v_add_f32_e32 v1, v8, v9
.LBB15_10:
	s_cmp_gt_u32 s16, 16
	s_mov_b32 s18, 16
	s_cbranch_scc1 .LBB15_13
; %bb.11:
	v_mbcnt_lo_u32_b32 v6, -1, 0
	s_delay_alu instid0(VALU_DEP_1)
	v_sub_nc_u32_e32 v8, 32, v6
.LBB15_12:                              ; =>This Inner Loop Header: Depth=1
	s_delay_alu instid0(VALU_DEP_1)
	v_cmp_lt_u32_e32 vcc_lo, s18, v8
	s_wait_alu 0xfffd
	v_cndmask_b32_e64 v9, 0, s18, vcc_lo
	s_lshr_b32 s18, s18, 1
	s_wait_alu 0xfffe
	s_cmp_lt_u32 s18, s16
	s_delay_alu instid0(VALU_DEP_1)
	v_add_lshl_u32 v9, v9, v6, 2
	ds_bpermute_b32 v9, v9, v1
	s_wait_dscnt 0x0
	v_add_f32_e32 v1, v1, v9
	s_cbranch_scc0 .LBB15_12
.LBB15_13:
	v_cmp_gt_u32_e32 vcc_lo, s16, v5
	s_and_b32 exec_lo, exec_lo, vcc_lo
; %bb.14:
	ds_store_b32 v3, v1
.LBB15_15:
	s_wait_alu 0xfffe
	s_or_b32 exec_lo, exec_lo, s17
	v_ashrrev_i32_e32 v3, 31, v2
	s_wait_loadcnt_dscnt 0x0
	s_barrier_signal -1
	s_barrier_wait -1
	global_inv scope:SCOPE_SE
	v_lshlrev_b64_e32 v[5:6], 2, v[2:3]
	v_lshl_add_u32 v4, v4, 2, 0
	ds_load_b32 v4, v4
	v_add_co_u32 v5, vcc_lo, s14, v5
	s_wait_alu 0xfffd
	v_add_co_ci_u32_e64 v6, null, s15, v6, vcc_lo
	s_mov_b32 s14, exec_lo
	global_load_b32 v5, v[5:6], off
	s_wait_loadcnt 0x0
	v_div_scale_f32 v1, null, v5, v5, 1.0
	v_div_scale_f32 v9, vcc_lo, 1.0, v5, 1.0
	s_delay_alu instid0(VALU_DEP_2) | instskip(NEXT) | instid1(TRANS32_DEP_1)
	v_rcp_f32_e32 v6, v1
	v_fma_f32 v8, -v1, v6, 1.0
	s_delay_alu instid0(VALU_DEP_1) | instskip(NEXT) | instid1(VALU_DEP_1)
	v_fmac_f32_e32 v6, v8, v6
	v_mul_f32_e32 v8, v9, v6
	s_delay_alu instid0(VALU_DEP_1) | instskip(NEXT) | instid1(VALU_DEP_1)
	v_fma_f32 v10, -v1, v8, v9
	v_fmac_f32_e32 v8, v10, v6
	s_delay_alu instid0(VALU_DEP_1) | instskip(SKIP_1) | instid1(VALU_DEP_1)
	v_fma_f32 v1, -v1, v8, v9
	s_wait_alu 0xfffd
	v_div_fmas_f32 v6, v1, v6, v8
	v_lshlrev_b64_e32 v[1:2], 1, v[2:3]
	s_delay_alu instid0(VALU_DEP_2)
	v_div_fixup_f32 v3, v6, v5, 1.0
	v_cmpx_eq_u32_e32 0, v7
	s_cbranch_execz .LBB15_17
; %bb.16:
	s_delay_alu instid0(VALU_DEP_3)
	v_add_co_u32 v5, vcc_lo, s6, v1
	s_wait_alu 0xfffd
	v_add_co_ci_u32_e64 v6, null, s7, v2, vcc_lo
	s_wait_dscnt 0x0
	v_fma_mixlo_f16 v8, v4, v3, 0
	global_store_b16 v[5:6], v8, off
.LBB15_17:
	s_wait_alu 0xfffe
	s_or_b32 exec_lo, exec_lo, s14
	s_and_saveexec_b32 s6, s0
	s_cbranch_execz .LBB15_20
; %bb.18:
	v_add_co_u32 v1, vcc_lo, s12, v1
	s_wait_alu 0xfffd
	v_add_co_ci_u32_e64 v2, null, s13, v2, vcc_lo
	v_mul_f32_e32 v5, v3, v3
	s_mov_b32 s6, 0
	global_load_u16 v1, v[1:2], off
	v_mul_f32_e32 v5, v3, v5
	s_wait_loadcnt 0x0
	v_cvt_f32_f16_e32 v2, v1
.LBB15_19:                              ; =>This Inner Loop Header: Depth=1
	v_ashrrev_i32_e32 v1, 31, v0
	v_add_nc_u32_e32 v7, s1, v7
	s_delay_alu instid0(VALU_DEP_2) | instskip(SKIP_1) | instid1(VALU_DEP_2)
	v_lshlrev_b64_e32 v[8:9], 1, v[0:1]
	v_add_nc_u32_e32 v0, s2, v0
	v_add_co_u32 v10, vcc_lo, s10, v8
	s_wait_alu 0xfffd
	s_delay_alu instid0(VALU_DEP_3)
	v_add_co_ci_u32_e64 v11, null, s11, v9, vcc_lo
	global_load_u16 v1, v[10:11], off
	v_add_co_u32 v10, vcc_lo, s8, v8
	s_wait_alu 0xfffd
	v_add_co_ci_u32_e64 v11, null, s9, v9, vcc_lo
	v_cmp_le_i32_e32 vcc_lo, s3, v7
	v_add_co_u32 v8, s0, s4, v8
	global_load_u16 v6, v[10:11], off
	s_wait_alu 0xf1ff
	v_add_co_ci_u32_e64 v9, null, s5, v9, s0
	s_wait_alu 0xfffe
	s_or_b32 s6, vcc_lo, s6
	s_wait_loadcnt 0x1
	v_cvt_f32_f16_e32 v1, v1
	s_delay_alu instid0(VALU_DEP_1) | instskip(SKIP_1) | instid1(VALU_DEP_1)
	v_mul_f32_e32 v1, v5, v1
	s_wait_dscnt 0x0
	v_mul_f32_e32 v1, v4, v1
	s_wait_loadcnt 0x0
	s_delay_alu instid0(VALU_DEP_1) | instskip(NEXT) | instid1(VALU_DEP_1)
	v_fma_mix_f32 v1, v3, v6, -v1 op_sel_hi:[0,1,0]
	v_fma_mixlo_f16 v1, v1, v2, 0
	global_store_b16 v[8:9], v1, off
	s_wait_alu 0xfffe
	s_and_not1_b32 exec_lo, exec_lo, s6
	s_cbranch_execnz .LBB15_19
.LBB15_20:
	s_endpgm
.LBB15_21:                              ;   in Loop: Header=BB15_22 Depth=1
	s_or_b32 exec_lo, exec_lo, s19
	s_lshr_b32 s19, s17, 1
	s_cmp_lt_u32 s17, 0x80
	s_mov_b32 s17, s19
	s_wait_loadcnt_dscnt 0x0
	s_barrier_signal -1
	s_barrier_wait -1
	global_inv scope:SCOPE_SE
	s_cbranch_scc1 .LBB15_7
.LBB15_22:                              ; =>This Inner Loop Header: Depth=1
	s_mov_b32 s19, exec_lo
	s_wait_alu 0xfffe
	v_cmpx_gt_i32_e64 s17, v5
	s_cbranch_execz .LBB15_21
; %bb.23:                               ;   in Loop: Header=BB15_22 Depth=1
	v_lshl_add_u32 v6, s17, 2, v3
	ds_load_b32 v8, v3
	ds_load_b32 v6, v6
	s_wait_dscnt 0x0
	v_add_f32_e32 v6, v8, v6
	ds_store_b32 v3, v6
	s_branch .LBB15_21
	.section	.rodata,"a",@progbits
	.p2align	6, 0x0
	.amdhsa_kernel _ZN2at6native12_GLOBAL__N_131weight_norm_bwd_last_dim_kernelIN3c104HalfEfEEvPT_S6_PKS5_S8_S8_PKT0_ii
		.amdhsa_group_segment_fixed_size 0
		.amdhsa_private_segment_fixed_size 0
		.amdhsa_kernarg_size 312
		.amdhsa_user_sgpr_count 2
		.amdhsa_user_sgpr_dispatch_ptr 0
		.amdhsa_user_sgpr_queue_ptr 0
		.amdhsa_user_sgpr_kernarg_segment_ptr 1
		.amdhsa_user_sgpr_dispatch_id 0
		.amdhsa_user_sgpr_private_segment_size 0
		.amdhsa_wavefront_size32 1
		.amdhsa_uses_dynamic_stack 0
		.amdhsa_enable_private_segment 0
		.amdhsa_system_sgpr_workgroup_id_x 1
		.amdhsa_system_sgpr_workgroup_id_y 0
		.amdhsa_system_sgpr_workgroup_id_z 0
		.amdhsa_system_sgpr_workgroup_info 0
		.amdhsa_system_vgpr_workitem_id 1
		.amdhsa_next_free_vgpr 12
		.amdhsa_next_free_sgpr 20
		.amdhsa_reserve_vcc 1
		.amdhsa_float_round_mode_32 0
		.amdhsa_float_round_mode_16_64 0
		.amdhsa_float_denorm_mode_32 3
		.amdhsa_float_denorm_mode_16_64 3
		.amdhsa_fp16_overflow 0
		.amdhsa_workgroup_processor_mode 1
		.amdhsa_memory_ordered 1
		.amdhsa_forward_progress 1
		.amdhsa_inst_pref_size 9
		.amdhsa_round_robin_scheduling 0
		.amdhsa_exception_fp_ieee_invalid_op 0
		.amdhsa_exception_fp_denorm_src 0
		.amdhsa_exception_fp_ieee_div_zero 0
		.amdhsa_exception_fp_ieee_overflow 0
		.amdhsa_exception_fp_ieee_underflow 0
		.amdhsa_exception_fp_ieee_inexact 0
		.amdhsa_exception_int_div_zero 0
	.end_amdhsa_kernel
	.section	.text._ZN2at6native12_GLOBAL__N_131weight_norm_bwd_last_dim_kernelIN3c104HalfEfEEvPT_S6_PKS5_S8_S8_PKT0_ii,"axG",@progbits,_ZN2at6native12_GLOBAL__N_131weight_norm_bwd_last_dim_kernelIN3c104HalfEfEEvPT_S6_PKS5_S8_S8_PKT0_ii,comdat
.Lfunc_end15:
	.size	_ZN2at6native12_GLOBAL__N_131weight_norm_bwd_last_dim_kernelIN3c104HalfEfEEvPT_S6_PKS5_S8_S8_PKT0_ii, .Lfunc_end15-_ZN2at6native12_GLOBAL__N_131weight_norm_bwd_last_dim_kernelIN3c104HalfEfEEvPT_S6_PKS5_S8_S8_PKT0_ii
                                        ; -- End function
	.set _ZN2at6native12_GLOBAL__N_131weight_norm_bwd_last_dim_kernelIN3c104HalfEfEEvPT_S6_PKS5_S8_S8_PKT0_ii.num_vgpr, 12
	.set _ZN2at6native12_GLOBAL__N_131weight_norm_bwd_last_dim_kernelIN3c104HalfEfEEvPT_S6_PKS5_S8_S8_PKT0_ii.num_agpr, 0
	.set _ZN2at6native12_GLOBAL__N_131weight_norm_bwd_last_dim_kernelIN3c104HalfEfEEvPT_S6_PKS5_S8_S8_PKT0_ii.numbered_sgpr, 20
	.set _ZN2at6native12_GLOBAL__N_131weight_norm_bwd_last_dim_kernelIN3c104HalfEfEEvPT_S6_PKS5_S8_S8_PKT0_ii.num_named_barrier, 0
	.set _ZN2at6native12_GLOBAL__N_131weight_norm_bwd_last_dim_kernelIN3c104HalfEfEEvPT_S6_PKS5_S8_S8_PKT0_ii.private_seg_size, 0
	.set _ZN2at6native12_GLOBAL__N_131weight_norm_bwd_last_dim_kernelIN3c104HalfEfEEvPT_S6_PKS5_S8_S8_PKT0_ii.uses_vcc, 1
	.set _ZN2at6native12_GLOBAL__N_131weight_norm_bwd_last_dim_kernelIN3c104HalfEfEEvPT_S6_PKS5_S8_S8_PKT0_ii.uses_flat_scratch, 0
	.set _ZN2at6native12_GLOBAL__N_131weight_norm_bwd_last_dim_kernelIN3c104HalfEfEEvPT_S6_PKS5_S8_S8_PKT0_ii.has_dyn_sized_stack, 0
	.set _ZN2at6native12_GLOBAL__N_131weight_norm_bwd_last_dim_kernelIN3c104HalfEfEEvPT_S6_PKS5_S8_S8_PKT0_ii.has_recursion, 0
	.set _ZN2at6native12_GLOBAL__N_131weight_norm_bwd_last_dim_kernelIN3c104HalfEfEEvPT_S6_PKS5_S8_S8_PKT0_ii.has_indirect_call, 0
	.section	.AMDGPU.csdata,"",@progbits
; Kernel info:
; codeLenInByte = 1144
; TotalNumSgprs: 22
; NumVgprs: 12
; ScratchSize: 0
; MemoryBound: 0
; FloatMode: 240
; IeeeMode: 1
; LDSByteSize: 0 bytes/workgroup (compile time only)
; SGPRBlocks: 0
; VGPRBlocks: 1
; NumSGPRsForWavesPerEU: 22
; NumVGPRsForWavesPerEU: 12
; Occupancy: 16
; WaveLimiterHint : 0
; COMPUTE_PGM_RSRC2:SCRATCH_EN: 0
; COMPUTE_PGM_RSRC2:USER_SGPR: 2
; COMPUTE_PGM_RSRC2:TRAP_HANDLER: 0
; COMPUTE_PGM_RSRC2:TGID_X_EN: 1
; COMPUTE_PGM_RSRC2:TGID_Y_EN: 0
; COMPUTE_PGM_RSRC2:TGID_Z_EN: 0
; COMPUTE_PGM_RSRC2:TIDIG_COMP_CNT: 1
	.section	.AMDGPU.gpr_maximums,"",@progbits
	.set amdgpu.max_num_vgpr, 0
	.set amdgpu.max_num_agpr, 0
	.set amdgpu.max_num_sgpr, 0
	.section	.AMDGPU.csdata,"",@progbits
	.type	__hip_cuid_9c57d9ec0c09b468,@object ; @__hip_cuid_9c57d9ec0c09b468
	.section	.bss,"aw",@nobits
	.globl	__hip_cuid_9c57d9ec0c09b468
__hip_cuid_9c57d9ec0c09b468:
	.byte	0                               ; 0x0
	.size	__hip_cuid_9c57d9ec0c09b468, 1

	.ident	"AMD clang version 22.0.0git (https://github.com/RadeonOpenCompute/llvm-project roc-7.2.4 26084 f58b06dce1f9c15707c5f808fd002e18c2accf7e)"
	.section	".note.GNU-stack","",@progbits
	.addrsig
	.addrsig_sym __hip_cuid_9c57d9ec0c09b468
	.amdgpu_metadata
---
amdhsa.kernels:
  - .args:
      - .actual_access:  write_only
        .address_space:  global
        .offset:         0
        .size:           8
        .value_kind:     global_buffer
      - .actual_access:  write_only
        .address_space:  global
        .offset:         8
        .size:           8
        .value_kind:     global_buffer
      - .actual_access:  read_only
        .address_space:  global
        .offset:         16
        .size:           8
        .value_kind:     global_buffer
      - .actual_access:  read_only
        .address_space:  global
        .offset:         24
        .size:           8
        .value_kind:     global_buffer
      - .offset:         32
        .size:           4
        .value_kind:     by_value
      - .offset:         40
        .size:           4
        .value_kind:     hidden_block_count_x
      - .offset:         44
        .size:           4
        .value_kind:     hidden_block_count_y
      - .offset:         48
        .size:           4
        .value_kind:     hidden_block_count_z
      - .offset:         52
        .size:           2
        .value_kind:     hidden_group_size_x
      - .offset:         54
        .size:           2
        .value_kind:     hidden_group_size_y
      - .offset:         56
        .size:           2
        .value_kind:     hidden_group_size_z
      - .offset:         58
        .size:           2
        .value_kind:     hidden_remainder_x
      - .offset:         60
        .size:           2
        .value_kind:     hidden_remainder_y
      - .offset:         62
        .size:           2
        .value_kind:     hidden_remainder_z
      - .offset:         80
        .size:           8
        .value_kind:     hidden_global_offset_x
      - .offset:         88
        .size:           8
        .value_kind:     hidden_global_offset_y
      - .offset:         96
        .size:           8
        .value_kind:     hidden_global_offset_z
      - .offset:         104
        .size:           2
        .value_kind:     hidden_grid_dims
      - .offset:         160
        .size:           4
        .value_kind:     hidden_dynamic_lds_size
    .group_segment_fixed_size: 0
    .kernarg_segment_align: 8
    .kernarg_segment_size: 296
    .language:       OpenCL C
    .language_version:
      - 2
      - 0
    .max_flat_workgroup_size: 1024
    .name:           _ZN2at6native12_GLOBAL__N_132weight_norm_fwd_first_dim_kernelIddEEvPT_PT0_PKS3_S8_i
    .private_segment_fixed_size: 0
    .sgpr_count:     20
    .sgpr_spill_count: 0
    .symbol:         _ZN2at6native12_GLOBAL__N_132weight_norm_fwd_first_dim_kernelIddEEvPT_PT0_PKS3_S8_i.kd
    .uniform_work_group_size: 1
    .uses_dynamic_stack: false
    .vgpr_count:     14
    .vgpr_spill_count: 0
    .wavefront_size: 32
    .workgroup_processor_mode: 1
  - .args:
      - .actual_access:  write_only
        .address_space:  global
        .offset:         0
        .size:           8
        .value_kind:     global_buffer
      - .actual_access:  write_only
        .address_space:  global
        .offset:         8
        .size:           8
        .value_kind:     global_buffer
      - .actual_access:  read_only
        .address_space:  global
        .offset:         16
        .size:           8
        .value_kind:     global_buffer
      - .actual_access:  read_only
        .address_space:  global
        .offset:         24
        .size:           8
        .value_kind:     global_buffer
      - .offset:         32
        .size:           4
        .value_kind:     by_value
      - .offset:         40
        .size:           4
        .value_kind:     hidden_block_count_x
      - .offset:         44
        .size:           4
        .value_kind:     hidden_block_count_y
      - .offset:         48
        .size:           4
        .value_kind:     hidden_block_count_z
      - .offset:         52
        .size:           2
        .value_kind:     hidden_group_size_x
      - .offset:         54
        .size:           2
        .value_kind:     hidden_group_size_y
      - .offset:         56
        .size:           2
        .value_kind:     hidden_group_size_z
      - .offset:         58
        .size:           2
        .value_kind:     hidden_remainder_x
      - .offset:         60
        .size:           2
        .value_kind:     hidden_remainder_y
      - .offset:         62
        .size:           2
        .value_kind:     hidden_remainder_z
      - .offset:         80
        .size:           8
        .value_kind:     hidden_global_offset_x
      - .offset:         88
        .size:           8
        .value_kind:     hidden_global_offset_y
      - .offset:         96
        .size:           8
        .value_kind:     hidden_global_offset_z
      - .offset:         104
        .size:           2
        .value_kind:     hidden_grid_dims
      - .offset:         160
        .size:           4
        .value_kind:     hidden_dynamic_lds_size
    .group_segment_fixed_size: 0
    .kernarg_segment_align: 8
    .kernarg_segment_size: 296
    .language:       OpenCL C
    .language_version:
      - 2
      - 0
    .max_flat_workgroup_size: 1024
    .name:           _ZN2at6native12_GLOBAL__N_132weight_norm_fwd_first_dim_kernelIffEEvPT_PT0_PKS3_S8_i
    .private_segment_fixed_size: 0
    .sgpr_count:     20
    .sgpr_spill_count: 0
    .symbol:         _ZN2at6native12_GLOBAL__N_132weight_norm_fwd_first_dim_kernelIffEEvPT_PT0_PKS3_S8_i.kd
    .uniform_work_group_size: 1
    .uses_dynamic_stack: false
    .vgpr_count:     9
    .vgpr_spill_count: 0
    .wavefront_size: 32
    .workgroup_processor_mode: 1
  - .args:
      - .actual_access:  write_only
        .address_space:  global
        .offset:         0
        .size:           8
        .value_kind:     global_buffer
      - .actual_access:  write_only
        .address_space:  global
        .offset:         8
        .size:           8
        .value_kind:     global_buffer
      - .actual_access:  read_only
        .address_space:  global
        .offset:         16
        .size:           8
        .value_kind:     global_buffer
      - .actual_access:  read_only
        .address_space:  global
        .offset:         24
        .size:           8
        .value_kind:     global_buffer
      - .offset:         32
        .size:           4
        .value_kind:     by_value
      - .offset:         40
        .size:           4
        .value_kind:     hidden_block_count_x
      - .offset:         44
        .size:           4
        .value_kind:     hidden_block_count_y
      - .offset:         48
        .size:           4
        .value_kind:     hidden_block_count_z
      - .offset:         52
        .size:           2
        .value_kind:     hidden_group_size_x
      - .offset:         54
        .size:           2
        .value_kind:     hidden_group_size_y
      - .offset:         56
        .size:           2
        .value_kind:     hidden_group_size_z
      - .offset:         58
        .size:           2
        .value_kind:     hidden_remainder_x
      - .offset:         60
        .size:           2
        .value_kind:     hidden_remainder_y
      - .offset:         62
        .size:           2
        .value_kind:     hidden_remainder_z
      - .offset:         80
        .size:           8
        .value_kind:     hidden_global_offset_x
      - .offset:         88
        .size:           8
        .value_kind:     hidden_global_offset_y
      - .offset:         96
        .size:           8
        .value_kind:     hidden_global_offset_z
      - .offset:         104
        .size:           2
        .value_kind:     hidden_grid_dims
      - .offset:         160
        .size:           4
        .value_kind:     hidden_dynamic_lds_size
    .group_segment_fixed_size: 0
    .kernarg_segment_align: 8
    .kernarg_segment_size: 296
    .language:       OpenCL C
    .language_version:
      - 2
      - 0
    .max_flat_workgroup_size: 1024
    .name:           _ZN2at6native12_GLOBAL__N_132weight_norm_fwd_first_dim_kernelIN3c108BFloat16EfEEvPT_PT0_PKS5_SA_i
    .private_segment_fixed_size: 0
    .sgpr_count:     22
    .sgpr_spill_count: 0
    .symbol:         _ZN2at6native12_GLOBAL__N_132weight_norm_fwd_first_dim_kernelIN3c108BFloat16EfEEvPT_PT0_PKS5_SA_i.kd
    .uniform_work_group_size: 1
    .uses_dynamic_stack: false
    .vgpr_count:     12
    .vgpr_spill_count: 0
    .wavefront_size: 32
    .workgroup_processor_mode: 1
  - .args:
      - .actual_access:  write_only
        .address_space:  global
        .offset:         0
        .size:           8
        .value_kind:     global_buffer
      - .actual_access:  write_only
        .address_space:  global
        .offset:         8
        .size:           8
        .value_kind:     global_buffer
      - .actual_access:  read_only
        .address_space:  global
        .offset:         16
        .size:           8
        .value_kind:     global_buffer
      - .actual_access:  read_only
        .address_space:  global
        .offset:         24
        .size:           8
        .value_kind:     global_buffer
      - .offset:         32
        .size:           4
        .value_kind:     by_value
      - .offset:         40
        .size:           4
        .value_kind:     hidden_block_count_x
      - .offset:         44
        .size:           4
        .value_kind:     hidden_block_count_y
      - .offset:         48
        .size:           4
        .value_kind:     hidden_block_count_z
      - .offset:         52
        .size:           2
        .value_kind:     hidden_group_size_x
      - .offset:         54
        .size:           2
        .value_kind:     hidden_group_size_y
      - .offset:         56
        .size:           2
        .value_kind:     hidden_group_size_z
      - .offset:         58
        .size:           2
        .value_kind:     hidden_remainder_x
      - .offset:         60
        .size:           2
        .value_kind:     hidden_remainder_y
      - .offset:         62
        .size:           2
        .value_kind:     hidden_remainder_z
      - .offset:         80
        .size:           8
        .value_kind:     hidden_global_offset_x
      - .offset:         88
        .size:           8
        .value_kind:     hidden_global_offset_y
      - .offset:         96
        .size:           8
        .value_kind:     hidden_global_offset_z
      - .offset:         104
        .size:           2
        .value_kind:     hidden_grid_dims
      - .offset:         160
        .size:           4
        .value_kind:     hidden_dynamic_lds_size
    .group_segment_fixed_size: 0
    .kernarg_segment_align: 8
    .kernarg_segment_size: 296
    .language:       OpenCL C
    .language_version:
      - 2
      - 0
    .max_flat_workgroup_size: 1024
    .name:           _ZN2at6native12_GLOBAL__N_132weight_norm_fwd_first_dim_kernelIN3c104HalfEfEEvPT_PT0_PKS5_SA_i
    .private_segment_fixed_size: 0
    .sgpr_count:     22
    .sgpr_spill_count: 0
    .symbol:         _ZN2at6native12_GLOBAL__N_132weight_norm_fwd_first_dim_kernelIN3c104HalfEfEEvPT_PT0_PKS5_SA_i.kd
    .uniform_work_group_size: 1
    .uses_dynamic_stack: false
    .vgpr_count:     12
    .vgpr_spill_count: 0
    .wavefront_size: 32
    .workgroup_processor_mode: 1
  - .args:
      - .actual_access:  write_only
        .address_space:  global
        .offset:         0
        .size:           8
        .value_kind:     global_buffer
      - .actual_access:  write_only
        .address_space:  global
        .offset:         8
        .size:           8
        .value_kind:     global_buffer
      - .actual_access:  read_only
        .address_space:  global
        .offset:         16
        .size:           8
        .value_kind:     global_buffer
      - .actual_access:  read_only
        .address_space:  global
        .offset:         24
        .size:           8
        .value_kind:     global_buffer
      - .offset:         32
        .size:           4
        .value_kind:     by_value
      - .offset:         36
        .size:           4
        .value_kind:     by_value
      - .offset:         40
        .size:           4
        .value_kind:     hidden_block_count_x
      - .offset:         44
        .size:           4
        .value_kind:     hidden_block_count_y
      - .offset:         48
        .size:           4
        .value_kind:     hidden_block_count_z
      - .offset:         52
        .size:           2
        .value_kind:     hidden_group_size_x
      - .offset:         54
        .size:           2
        .value_kind:     hidden_group_size_y
      - .offset:         56
        .size:           2
        .value_kind:     hidden_group_size_z
      - .offset:         58
        .size:           2
        .value_kind:     hidden_remainder_x
      - .offset:         60
        .size:           2
        .value_kind:     hidden_remainder_y
      - .offset:         62
        .size:           2
        .value_kind:     hidden_remainder_z
      - .offset:         80
        .size:           8
        .value_kind:     hidden_global_offset_x
      - .offset:         88
        .size:           8
        .value_kind:     hidden_global_offset_y
      - .offset:         96
        .size:           8
        .value_kind:     hidden_global_offset_z
      - .offset:         104
        .size:           2
        .value_kind:     hidden_grid_dims
      - .offset:         160
        .size:           4
        .value_kind:     hidden_dynamic_lds_size
    .group_segment_fixed_size: 0
    .kernarg_segment_align: 8
    .kernarg_segment_size: 296
    .language:       OpenCL C
    .language_version:
      - 2
      - 0
    .max_flat_workgroup_size: 1024
    .name:           _ZN2at6native12_GLOBAL__N_131weight_norm_fwd_last_dim_kernelIddEEvPT_PT0_PKS3_S8_ii
    .private_segment_fixed_size: 0
    .sgpr_count:     19
    .sgpr_spill_count: 0
    .symbol:         _ZN2at6native12_GLOBAL__N_131weight_norm_fwd_last_dim_kernelIddEEvPT_PT0_PKS3_S8_ii.kd
    .uniform_work_group_size: 1
    .uses_dynamic_stack: false
    .vgpr_count:     17
    .vgpr_spill_count: 0
    .wavefront_size: 32
    .workgroup_processor_mode: 1
  - .args:
      - .actual_access:  write_only
        .address_space:  global
        .offset:         0
        .size:           8
        .value_kind:     global_buffer
      - .actual_access:  write_only
        .address_space:  global
        .offset:         8
        .size:           8
        .value_kind:     global_buffer
      - .actual_access:  read_only
        .address_space:  global
        .offset:         16
        .size:           8
        .value_kind:     global_buffer
      - .actual_access:  read_only
        .address_space:  global
        .offset:         24
        .size:           8
        .value_kind:     global_buffer
      - .offset:         32
        .size:           4
        .value_kind:     by_value
      - .offset:         36
        .size:           4
        .value_kind:     by_value
      - .offset:         40
        .size:           4
        .value_kind:     hidden_block_count_x
      - .offset:         44
        .size:           4
        .value_kind:     hidden_block_count_y
      - .offset:         48
        .size:           4
        .value_kind:     hidden_block_count_z
      - .offset:         52
        .size:           2
        .value_kind:     hidden_group_size_x
      - .offset:         54
        .size:           2
        .value_kind:     hidden_group_size_y
      - .offset:         56
        .size:           2
        .value_kind:     hidden_group_size_z
      - .offset:         58
        .size:           2
        .value_kind:     hidden_remainder_x
      - .offset:         60
        .size:           2
        .value_kind:     hidden_remainder_y
      - .offset:         62
        .size:           2
        .value_kind:     hidden_remainder_z
      - .offset:         80
        .size:           8
        .value_kind:     hidden_global_offset_x
      - .offset:         88
        .size:           8
        .value_kind:     hidden_global_offset_y
      - .offset:         96
        .size:           8
        .value_kind:     hidden_global_offset_z
      - .offset:         104
        .size:           2
        .value_kind:     hidden_grid_dims
      - .offset:         160
        .size:           4
        .value_kind:     hidden_dynamic_lds_size
    .group_segment_fixed_size: 0
    .kernarg_segment_align: 8
    .kernarg_segment_size: 296
    .language:       OpenCL C
    .language_version:
      - 2
      - 0
    .max_flat_workgroup_size: 1024
    .name:           _ZN2at6native12_GLOBAL__N_131weight_norm_fwd_last_dim_kernelIffEEvPT_PT0_PKS3_S8_ii
    .private_segment_fixed_size: 0
    .sgpr_count:     19
    .sgpr_spill_count: 0
    .symbol:         _ZN2at6native12_GLOBAL__N_131weight_norm_fwd_last_dim_kernelIffEEvPT_PT0_PKS3_S8_ii.kd
    .uniform_work_group_size: 1
    .uses_dynamic_stack: false
    .vgpr_count:     12
    .vgpr_spill_count: 0
    .wavefront_size: 32
    .workgroup_processor_mode: 1
  - .args:
      - .actual_access:  write_only
        .address_space:  global
        .offset:         0
        .size:           8
        .value_kind:     global_buffer
      - .actual_access:  write_only
        .address_space:  global
        .offset:         8
        .size:           8
        .value_kind:     global_buffer
      - .actual_access:  read_only
        .address_space:  global
        .offset:         16
        .size:           8
        .value_kind:     global_buffer
      - .actual_access:  read_only
        .address_space:  global
        .offset:         24
        .size:           8
        .value_kind:     global_buffer
      - .offset:         32
        .size:           4
        .value_kind:     by_value
      - .offset:         36
        .size:           4
        .value_kind:     by_value
      - .offset:         40
        .size:           4
        .value_kind:     hidden_block_count_x
      - .offset:         44
        .size:           4
        .value_kind:     hidden_block_count_y
      - .offset:         48
        .size:           4
        .value_kind:     hidden_block_count_z
      - .offset:         52
        .size:           2
        .value_kind:     hidden_group_size_x
      - .offset:         54
        .size:           2
        .value_kind:     hidden_group_size_y
      - .offset:         56
        .size:           2
        .value_kind:     hidden_group_size_z
      - .offset:         58
        .size:           2
        .value_kind:     hidden_remainder_x
      - .offset:         60
        .size:           2
        .value_kind:     hidden_remainder_y
      - .offset:         62
        .size:           2
        .value_kind:     hidden_remainder_z
      - .offset:         80
        .size:           8
        .value_kind:     hidden_global_offset_x
      - .offset:         88
        .size:           8
        .value_kind:     hidden_global_offset_y
      - .offset:         96
        .size:           8
        .value_kind:     hidden_global_offset_z
      - .offset:         104
        .size:           2
        .value_kind:     hidden_grid_dims
      - .offset:         160
        .size:           4
        .value_kind:     hidden_dynamic_lds_size
    .group_segment_fixed_size: 0
    .kernarg_segment_align: 8
    .kernarg_segment_size: 296
    .language:       OpenCL C
    .language_version:
      - 2
      - 0
    .max_flat_workgroup_size: 1024
    .name:           _ZN2at6native12_GLOBAL__N_131weight_norm_fwd_last_dim_kernelIN3c108BFloat16EfEEvPT_PT0_PKS5_SA_ii
    .private_segment_fixed_size: 0
    .sgpr_count:     19
    .sgpr_spill_count: 0
    .symbol:         _ZN2at6native12_GLOBAL__N_131weight_norm_fwd_last_dim_kernelIN3c108BFloat16EfEEvPT_PT0_PKS5_SA_ii.kd
    .uniform_work_group_size: 1
    .uses_dynamic_stack: false
    .vgpr_count:     12
    .vgpr_spill_count: 0
    .wavefront_size: 32
    .workgroup_processor_mode: 1
  - .args:
      - .actual_access:  write_only
        .address_space:  global
        .offset:         0
        .size:           8
        .value_kind:     global_buffer
      - .actual_access:  write_only
        .address_space:  global
        .offset:         8
        .size:           8
        .value_kind:     global_buffer
      - .actual_access:  read_only
        .address_space:  global
        .offset:         16
        .size:           8
        .value_kind:     global_buffer
      - .actual_access:  read_only
        .address_space:  global
        .offset:         24
        .size:           8
        .value_kind:     global_buffer
      - .offset:         32
        .size:           4
        .value_kind:     by_value
      - .offset:         36
        .size:           4
        .value_kind:     by_value
      - .offset:         40
        .size:           4
        .value_kind:     hidden_block_count_x
      - .offset:         44
        .size:           4
        .value_kind:     hidden_block_count_y
      - .offset:         48
        .size:           4
        .value_kind:     hidden_block_count_z
      - .offset:         52
        .size:           2
        .value_kind:     hidden_group_size_x
      - .offset:         54
        .size:           2
        .value_kind:     hidden_group_size_y
      - .offset:         56
        .size:           2
        .value_kind:     hidden_group_size_z
      - .offset:         58
        .size:           2
        .value_kind:     hidden_remainder_x
      - .offset:         60
        .size:           2
        .value_kind:     hidden_remainder_y
      - .offset:         62
        .size:           2
        .value_kind:     hidden_remainder_z
      - .offset:         80
        .size:           8
        .value_kind:     hidden_global_offset_x
      - .offset:         88
        .size:           8
        .value_kind:     hidden_global_offset_y
      - .offset:         96
        .size:           8
        .value_kind:     hidden_global_offset_z
      - .offset:         104
        .size:           2
        .value_kind:     hidden_grid_dims
      - .offset:         160
        .size:           4
        .value_kind:     hidden_dynamic_lds_size
    .group_segment_fixed_size: 0
    .kernarg_segment_align: 8
    .kernarg_segment_size: 296
    .language:       OpenCL C
    .language_version:
      - 2
      - 0
    .max_flat_workgroup_size: 1024
    .name:           _ZN2at6native12_GLOBAL__N_131weight_norm_fwd_last_dim_kernelIN3c104HalfEfEEvPT_PT0_PKS5_SA_ii
    .private_segment_fixed_size: 0
    .sgpr_count:     19
    .sgpr_spill_count: 0
    .symbol:         _ZN2at6native12_GLOBAL__N_131weight_norm_fwd_last_dim_kernelIN3c104HalfEfEEvPT_PT0_PKS5_SA_ii.kd
    .uniform_work_group_size: 1
    .uses_dynamic_stack: false
    .vgpr_count:     12
    .vgpr_spill_count: 0
    .wavefront_size: 32
    .workgroup_processor_mode: 1
  - .args:
      - .actual_access:  write_only
        .address_space:  global
        .offset:         0
        .size:           8
        .value_kind:     global_buffer
      - .actual_access:  write_only
        .address_space:  global
        .offset:         8
        .size:           8
        .value_kind:     global_buffer
      - .actual_access:  read_only
        .address_space:  global
        .offset:         16
        .size:           8
        .value_kind:     global_buffer
      - .actual_access:  read_only
        .address_space:  global
        .offset:         24
        .size:           8
        .value_kind:     global_buffer
      - .actual_access:  read_only
        .address_space:  global
        .offset:         32
        .size:           8
        .value_kind:     global_buffer
      - .actual_access:  read_only
        .address_space:  global
        .offset:         40
        .size:           8
        .value_kind:     global_buffer
      - .offset:         48
        .size:           4
        .value_kind:     by_value
      - .offset:         56
        .size:           4
        .value_kind:     hidden_block_count_x
      - .offset:         60
        .size:           4
        .value_kind:     hidden_block_count_y
      - .offset:         64
        .size:           4
        .value_kind:     hidden_block_count_z
      - .offset:         68
        .size:           2
        .value_kind:     hidden_group_size_x
      - .offset:         70
        .size:           2
        .value_kind:     hidden_group_size_y
      - .offset:         72
        .size:           2
        .value_kind:     hidden_group_size_z
      - .offset:         74
        .size:           2
        .value_kind:     hidden_remainder_x
      - .offset:         76
        .size:           2
        .value_kind:     hidden_remainder_y
      - .offset:         78
        .size:           2
        .value_kind:     hidden_remainder_z
      - .offset:         96
        .size:           8
        .value_kind:     hidden_global_offset_x
      - .offset:         104
        .size:           8
        .value_kind:     hidden_global_offset_y
      - .offset:         112
        .size:           8
        .value_kind:     hidden_global_offset_z
      - .offset:         120
        .size:           2
        .value_kind:     hidden_grid_dims
      - .offset:         176
        .size:           4
        .value_kind:     hidden_dynamic_lds_size
    .group_segment_fixed_size: 0
    .kernarg_segment_align: 8
    .kernarg_segment_size: 312
    .language:       OpenCL C
    .language_version:
      - 2
      - 0
    .max_flat_workgroup_size: 1024
    .name:           _ZN2at6native12_GLOBAL__N_132weight_norm_bwd_first_dim_kernelIddEEvPT_S4_PKS3_S6_S6_PKT0_i
    .private_segment_fixed_size: 0
    .sgpr_count:     20
    .sgpr_spill_count: 0
    .symbol:         _ZN2at6native12_GLOBAL__N_132weight_norm_bwd_first_dim_kernelIddEEvPT_S4_PKS3_S6_S6_PKT0_i.kd
    .uniform_work_group_size: 1
    .uses_dynamic_stack: false
    .vgpr_count:     14
    .vgpr_spill_count: 0
    .wavefront_size: 32
    .workgroup_processor_mode: 1
  - .args:
      - .actual_access:  write_only
        .address_space:  global
        .offset:         0
        .size:           8
        .value_kind:     global_buffer
      - .actual_access:  write_only
        .address_space:  global
        .offset:         8
        .size:           8
        .value_kind:     global_buffer
      - .actual_access:  read_only
        .address_space:  global
        .offset:         16
        .size:           8
        .value_kind:     global_buffer
      - .actual_access:  read_only
        .address_space:  global
        .offset:         24
        .size:           8
        .value_kind:     global_buffer
      - .actual_access:  read_only
        .address_space:  global
        .offset:         32
        .size:           8
        .value_kind:     global_buffer
      - .actual_access:  read_only
        .address_space:  global
        .offset:         40
        .size:           8
        .value_kind:     global_buffer
      - .offset:         48
        .size:           4
        .value_kind:     by_value
      - .offset:         56
        .size:           4
        .value_kind:     hidden_block_count_x
      - .offset:         60
        .size:           4
        .value_kind:     hidden_block_count_y
      - .offset:         64
        .size:           4
        .value_kind:     hidden_block_count_z
      - .offset:         68
        .size:           2
        .value_kind:     hidden_group_size_x
      - .offset:         70
        .size:           2
        .value_kind:     hidden_group_size_y
      - .offset:         72
        .size:           2
        .value_kind:     hidden_group_size_z
      - .offset:         74
        .size:           2
        .value_kind:     hidden_remainder_x
      - .offset:         76
        .size:           2
        .value_kind:     hidden_remainder_y
      - .offset:         78
        .size:           2
        .value_kind:     hidden_remainder_z
      - .offset:         96
        .size:           8
        .value_kind:     hidden_global_offset_x
      - .offset:         104
        .size:           8
        .value_kind:     hidden_global_offset_y
      - .offset:         112
        .size:           8
        .value_kind:     hidden_global_offset_z
      - .offset:         120
        .size:           2
        .value_kind:     hidden_grid_dims
      - .offset:         176
        .size:           4
        .value_kind:     hidden_dynamic_lds_size
    .group_segment_fixed_size: 0
    .kernarg_segment_align: 8
    .kernarg_segment_size: 312
    .language:       OpenCL C
    .language_version:
      - 2
      - 0
    .max_flat_workgroup_size: 1024
    .name:           _ZN2at6native12_GLOBAL__N_132weight_norm_bwd_first_dim_kernelIffEEvPT_S4_PKS3_S6_S6_PKT0_i
    .private_segment_fixed_size: 0
    .sgpr_count:     20
    .sgpr_spill_count: 0
    .symbol:         _ZN2at6native12_GLOBAL__N_132weight_norm_bwd_first_dim_kernelIffEEvPT_S4_PKS3_S6_S6_PKT0_i.kd
    .uniform_work_group_size: 1
    .uses_dynamic_stack: false
    .vgpr_count:     12
    .vgpr_spill_count: 0
    .wavefront_size: 32
    .workgroup_processor_mode: 1
  - .args:
      - .actual_access:  write_only
        .address_space:  global
        .offset:         0
        .size:           8
        .value_kind:     global_buffer
      - .actual_access:  write_only
        .address_space:  global
        .offset:         8
        .size:           8
        .value_kind:     global_buffer
      - .actual_access:  read_only
        .address_space:  global
        .offset:         16
        .size:           8
        .value_kind:     global_buffer
      - .actual_access:  read_only
        .address_space:  global
        .offset:         24
        .size:           8
        .value_kind:     global_buffer
      - .actual_access:  read_only
        .address_space:  global
        .offset:         32
        .size:           8
        .value_kind:     global_buffer
      - .actual_access:  read_only
        .address_space:  global
        .offset:         40
        .size:           8
        .value_kind:     global_buffer
      - .offset:         48
        .size:           4
        .value_kind:     by_value
      - .offset:         56
        .size:           4
        .value_kind:     hidden_block_count_x
      - .offset:         60
        .size:           4
        .value_kind:     hidden_block_count_y
      - .offset:         64
        .size:           4
        .value_kind:     hidden_block_count_z
      - .offset:         68
        .size:           2
        .value_kind:     hidden_group_size_x
      - .offset:         70
        .size:           2
        .value_kind:     hidden_group_size_y
      - .offset:         72
        .size:           2
        .value_kind:     hidden_group_size_z
      - .offset:         74
        .size:           2
        .value_kind:     hidden_remainder_x
      - .offset:         76
        .size:           2
        .value_kind:     hidden_remainder_y
      - .offset:         78
        .size:           2
        .value_kind:     hidden_remainder_z
      - .offset:         96
        .size:           8
        .value_kind:     hidden_global_offset_x
      - .offset:         104
        .size:           8
        .value_kind:     hidden_global_offset_y
      - .offset:         112
        .size:           8
        .value_kind:     hidden_global_offset_z
      - .offset:         120
        .size:           2
        .value_kind:     hidden_grid_dims
      - .offset:         176
        .size:           4
        .value_kind:     hidden_dynamic_lds_size
    .group_segment_fixed_size: 0
    .kernarg_segment_align: 8
    .kernarg_segment_size: 312
    .language:       OpenCL C
    .language_version:
      - 2
      - 0
    .max_flat_workgroup_size: 1024
    .name:           _ZN2at6native12_GLOBAL__N_132weight_norm_bwd_first_dim_kernelIN3c108BFloat16EfEEvPT_S6_PKS5_S8_S8_PKT0_i
    .private_segment_fixed_size: 0
    .sgpr_count:     26
    .sgpr_spill_count: 0
    .symbol:         _ZN2at6native12_GLOBAL__N_132weight_norm_bwd_first_dim_kernelIN3c108BFloat16EfEEvPT_S6_PKS5_S8_S8_PKT0_i.kd
    .uniform_work_group_size: 1
    .uses_dynamic_stack: false
    .vgpr_count:     11
    .vgpr_spill_count: 0
    .wavefront_size: 32
    .workgroup_processor_mode: 1
  - .args:
      - .actual_access:  write_only
        .address_space:  global
        .offset:         0
        .size:           8
        .value_kind:     global_buffer
      - .actual_access:  write_only
        .address_space:  global
        .offset:         8
        .size:           8
        .value_kind:     global_buffer
      - .actual_access:  read_only
        .address_space:  global
        .offset:         16
        .size:           8
        .value_kind:     global_buffer
      - .actual_access:  read_only
        .address_space:  global
        .offset:         24
        .size:           8
        .value_kind:     global_buffer
      - .actual_access:  read_only
        .address_space:  global
        .offset:         32
        .size:           8
        .value_kind:     global_buffer
      - .actual_access:  read_only
        .address_space:  global
        .offset:         40
        .size:           8
        .value_kind:     global_buffer
      - .offset:         48
        .size:           4
        .value_kind:     by_value
      - .offset:         56
        .size:           4
        .value_kind:     hidden_block_count_x
      - .offset:         60
        .size:           4
        .value_kind:     hidden_block_count_y
      - .offset:         64
        .size:           4
        .value_kind:     hidden_block_count_z
      - .offset:         68
        .size:           2
        .value_kind:     hidden_group_size_x
      - .offset:         70
        .size:           2
        .value_kind:     hidden_group_size_y
      - .offset:         72
        .size:           2
        .value_kind:     hidden_group_size_z
      - .offset:         74
        .size:           2
        .value_kind:     hidden_remainder_x
      - .offset:         76
        .size:           2
        .value_kind:     hidden_remainder_y
      - .offset:         78
        .size:           2
        .value_kind:     hidden_remainder_z
      - .offset:         96
        .size:           8
        .value_kind:     hidden_global_offset_x
      - .offset:         104
        .size:           8
        .value_kind:     hidden_global_offset_y
      - .offset:         112
        .size:           8
        .value_kind:     hidden_global_offset_z
      - .offset:         120
        .size:           2
        .value_kind:     hidden_grid_dims
      - .offset:         176
        .size:           4
        .value_kind:     hidden_dynamic_lds_size
    .group_segment_fixed_size: 0
    .kernarg_segment_align: 8
    .kernarg_segment_size: 312
    .language:       OpenCL C
    .language_version:
      - 2
      - 0
    .max_flat_workgroup_size: 1024
    .name:           _ZN2at6native12_GLOBAL__N_132weight_norm_bwd_first_dim_kernelIN3c104HalfEfEEvPT_S6_PKS5_S8_S8_PKT0_i
    .private_segment_fixed_size: 0
    .sgpr_count:     23
    .sgpr_spill_count: 0
    .symbol:         _ZN2at6native12_GLOBAL__N_132weight_norm_bwd_first_dim_kernelIN3c104HalfEfEEvPT_S6_PKS5_S8_S8_PKT0_i.kd
    .uniform_work_group_size: 1
    .uses_dynamic_stack: false
    .vgpr_count:     14
    .vgpr_spill_count: 0
    .wavefront_size: 32
    .workgroup_processor_mode: 1
  - .args:
      - .actual_access:  write_only
        .address_space:  global
        .offset:         0
        .size:           8
        .value_kind:     global_buffer
      - .actual_access:  write_only
        .address_space:  global
        .offset:         8
        .size:           8
        .value_kind:     global_buffer
      - .actual_access:  read_only
        .address_space:  global
        .offset:         16
        .size:           8
        .value_kind:     global_buffer
      - .actual_access:  read_only
        .address_space:  global
        .offset:         24
        .size:           8
        .value_kind:     global_buffer
      - .actual_access:  read_only
        .address_space:  global
        .offset:         32
        .size:           8
        .value_kind:     global_buffer
      - .actual_access:  read_only
        .address_space:  global
        .offset:         40
        .size:           8
        .value_kind:     global_buffer
      - .offset:         48
        .size:           4
        .value_kind:     by_value
      - .offset:         52
        .size:           4
        .value_kind:     by_value
      - .offset:         56
        .size:           4
        .value_kind:     hidden_block_count_x
      - .offset:         60
        .size:           4
        .value_kind:     hidden_block_count_y
      - .offset:         64
        .size:           4
        .value_kind:     hidden_block_count_z
      - .offset:         68
        .size:           2
        .value_kind:     hidden_group_size_x
      - .offset:         70
        .size:           2
        .value_kind:     hidden_group_size_y
      - .offset:         72
        .size:           2
        .value_kind:     hidden_group_size_z
      - .offset:         74
        .size:           2
        .value_kind:     hidden_remainder_x
      - .offset:         76
        .size:           2
        .value_kind:     hidden_remainder_y
      - .offset:         78
        .size:           2
        .value_kind:     hidden_remainder_z
      - .offset:         96
        .size:           8
        .value_kind:     hidden_global_offset_x
      - .offset:         104
        .size:           8
        .value_kind:     hidden_global_offset_y
      - .offset:         112
        .size:           8
        .value_kind:     hidden_global_offset_z
      - .offset:         120
        .size:           2
        .value_kind:     hidden_grid_dims
      - .offset:         176
        .size:           4
        .value_kind:     hidden_dynamic_lds_size
    .group_segment_fixed_size: 0
    .kernarg_segment_align: 8
    .kernarg_segment_size: 312
    .language:       OpenCL C
    .language_version:
      - 2
      - 0
    .max_flat_workgroup_size: 1024
    .name:           _ZN2at6native12_GLOBAL__N_131weight_norm_bwd_last_dim_kernelIddEEvPT_S4_PKS3_S6_S6_PKT0_ii
    .private_segment_fixed_size: 0
    .sgpr_count:     22
    .sgpr_spill_count: 0
    .symbol:         _ZN2at6native12_GLOBAL__N_131weight_norm_bwd_last_dim_kernelIddEEvPT_S4_PKS3_S6_S6_PKT0_ii.kd
    .uniform_work_group_size: 1
    .uses_dynamic_stack: false
    .vgpr_count:     16
    .vgpr_spill_count: 0
    .wavefront_size: 32
    .workgroup_processor_mode: 1
  - .args:
      - .actual_access:  write_only
        .address_space:  global
        .offset:         0
        .size:           8
        .value_kind:     global_buffer
      - .actual_access:  write_only
        .address_space:  global
        .offset:         8
        .size:           8
        .value_kind:     global_buffer
      - .actual_access:  read_only
        .address_space:  global
        .offset:         16
        .size:           8
        .value_kind:     global_buffer
      - .actual_access:  read_only
        .address_space:  global
        .offset:         24
        .size:           8
        .value_kind:     global_buffer
      - .actual_access:  read_only
        .address_space:  global
        .offset:         32
        .size:           8
        .value_kind:     global_buffer
      - .actual_access:  read_only
        .address_space:  global
        .offset:         40
        .size:           8
        .value_kind:     global_buffer
      - .offset:         48
        .size:           4
        .value_kind:     by_value
      - .offset:         52
        .size:           4
        .value_kind:     by_value
      - .offset:         56
        .size:           4
        .value_kind:     hidden_block_count_x
      - .offset:         60
        .size:           4
        .value_kind:     hidden_block_count_y
      - .offset:         64
        .size:           4
        .value_kind:     hidden_block_count_z
      - .offset:         68
        .size:           2
        .value_kind:     hidden_group_size_x
      - .offset:         70
        .size:           2
        .value_kind:     hidden_group_size_y
      - .offset:         72
        .size:           2
        .value_kind:     hidden_group_size_z
      - .offset:         74
        .size:           2
        .value_kind:     hidden_remainder_x
      - .offset:         76
        .size:           2
        .value_kind:     hidden_remainder_y
      - .offset:         78
        .size:           2
        .value_kind:     hidden_remainder_z
      - .offset:         96
        .size:           8
        .value_kind:     hidden_global_offset_x
      - .offset:         104
        .size:           8
        .value_kind:     hidden_global_offset_y
      - .offset:         112
        .size:           8
        .value_kind:     hidden_global_offset_z
      - .offset:         120
        .size:           2
        .value_kind:     hidden_grid_dims
      - .offset:         176
        .size:           4
        .value_kind:     hidden_dynamic_lds_size
    .group_segment_fixed_size: 0
    .kernarg_segment_align: 8
    .kernarg_segment_size: 312
    .language:       OpenCL C
    .language_version:
      - 2
      - 0
    .max_flat_workgroup_size: 1024
    .name:           _ZN2at6native12_GLOBAL__N_131weight_norm_bwd_last_dim_kernelIffEEvPT_S4_PKS3_S6_S6_PKT0_ii
    .private_segment_fixed_size: 0
    .sgpr_count:     22
    .sgpr_spill_count: 0
    .symbol:         _ZN2at6native12_GLOBAL__N_131weight_norm_bwd_last_dim_kernelIffEEvPT_S4_PKS3_S6_S6_PKT0_ii.kd
    .uniform_work_group_size: 1
    .uses_dynamic_stack: false
    .vgpr_count:     12
    .vgpr_spill_count: 0
    .wavefront_size: 32
    .workgroup_processor_mode: 1
  - .args:
      - .actual_access:  write_only
        .address_space:  global
        .offset:         0
        .size:           8
        .value_kind:     global_buffer
      - .actual_access:  write_only
        .address_space:  global
        .offset:         8
        .size:           8
        .value_kind:     global_buffer
      - .actual_access:  read_only
        .address_space:  global
        .offset:         16
        .size:           8
        .value_kind:     global_buffer
      - .actual_access:  read_only
        .address_space:  global
        .offset:         24
        .size:           8
        .value_kind:     global_buffer
      - .actual_access:  read_only
        .address_space:  global
        .offset:         32
        .size:           8
        .value_kind:     global_buffer
      - .actual_access:  read_only
        .address_space:  global
        .offset:         40
        .size:           8
        .value_kind:     global_buffer
      - .offset:         48
        .size:           4
        .value_kind:     by_value
      - .offset:         52
        .size:           4
        .value_kind:     by_value
      - .offset:         56
        .size:           4
        .value_kind:     hidden_block_count_x
      - .offset:         60
        .size:           4
        .value_kind:     hidden_block_count_y
      - .offset:         64
        .size:           4
        .value_kind:     hidden_block_count_z
      - .offset:         68
        .size:           2
        .value_kind:     hidden_group_size_x
      - .offset:         70
        .size:           2
        .value_kind:     hidden_group_size_y
      - .offset:         72
        .size:           2
        .value_kind:     hidden_group_size_z
      - .offset:         74
        .size:           2
        .value_kind:     hidden_remainder_x
      - .offset:         76
        .size:           2
        .value_kind:     hidden_remainder_y
      - .offset:         78
        .size:           2
        .value_kind:     hidden_remainder_z
      - .offset:         96
        .size:           8
        .value_kind:     hidden_global_offset_x
      - .offset:         104
        .size:           8
        .value_kind:     hidden_global_offset_y
      - .offset:         112
        .size:           8
        .value_kind:     hidden_global_offset_z
      - .offset:         120
        .size:           2
        .value_kind:     hidden_grid_dims
      - .offset:         176
        .size:           4
        .value_kind:     hidden_dynamic_lds_size
    .group_segment_fixed_size: 0
    .kernarg_segment_align: 8
    .kernarg_segment_size: 312
    .language:       OpenCL C
    .language_version:
      - 2
      - 0
    .max_flat_workgroup_size: 1024
    .name:           _ZN2at6native12_GLOBAL__N_131weight_norm_bwd_last_dim_kernelIN3c108BFloat16EfEEvPT_S6_PKS5_S8_S8_PKT0_ii
    .private_segment_fixed_size: 0
    .sgpr_count:     22
    .sgpr_spill_count: 0
    .symbol:         _ZN2at6native12_GLOBAL__N_131weight_norm_bwd_last_dim_kernelIN3c108BFloat16EfEEvPT_S6_PKS5_S8_S8_PKT0_ii.kd
    .uniform_work_group_size: 1
    .uses_dynamic_stack: false
    .vgpr_count:     14
    .vgpr_spill_count: 0
    .wavefront_size: 32
    .workgroup_processor_mode: 1
  - .args:
      - .actual_access:  write_only
        .address_space:  global
        .offset:         0
        .size:           8
        .value_kind:     global_buffer
      - .actual_access:  write_only
        .address_space:  global
        .offset:         8
        .size:           8
        .value_kind:     global_buffer
      - .actual_access:  read_only
        .address_space:  global
        .offset:         16
        .size:           8
        .value_kind:     global_buffer
      - .actual_access:  read_only
        .address_space:  global
        .offset:         24
        .size:           8
        .value_kind:     global_buffer
      - .actual_access:  read_only
        .address_space:  global
        .offset:         32
        .size:           8
        .value_kind:     global_buffer
      - .actual_access:  read_only
        .address_space:  global
        .offset:         40
        .size:           8
        .value_kind:     global_buffer
      - .offset:         48
        .size:           4
        .value_kind:     by_value
      - .offset:         52
        .size:           4
        .value_kind:     by_value
      - .offset:         56
        .size:           4
        .value_kind:     hidden_block_count_x
      - .offset:         60
        .size:           4
        .value_kind:     hidden_block_count_y
      - .offset:         64
        .size:           4
        .value_kind:     hidden_block_count_z
      - .offset:         68
        .size:           2
        .value_kind:     hidden_group_size_x
      - .offset:         70
        .size:           2
        .value_kind:     hidden_group_size_y
      - .offset:         72
        .size:           2
        .value_kind:     hidden_group_size_z
      - .offset:         74
        .size:           2
        .value_kind:     hidden_remainder_x
      - .offset:         76
        .size:           2
        .value_kind:     hidden_remainder_y
      - .offset:         78
        .size:           2
        .value_kind:     hidden_remainder_z
      - .offset:         96
        .size:           8
        .value_kind:     hidden_global_offset_x
      - .offset:         104
        .size:           8
        .value_kind:     hidden_global_offset_y
      - .offset:         112
        .size:           8
        .value_kind:     hidden_global_offset_z
      - .offset:         120
        .size:           2
        .value_kind:     hidden_grid_dims
      - .offset:         176
        .size:           4
        .value_kind:     hidden_dynamic_lds_size
    .group_segment_fixed_size: 0
    .kernarg_segment_align: 8
    .kernarg_segment_size: 312
    .language:       OpenCL C
    .language_version:
      - 2
      - 0
    .max_flat_workgroup_size: 1024
    .name:           _ZN2at6native12_GLOBAL__N_131weight_norm_bwd_last_dim_kernelIN3c104HalfEfEEvPT_S6_PKS5_S8_S8_PKT0_ii
    .private_segment_fixed_size: 0
    .sgpr_count:     22
    .sgpr_spill_count: 0
    .symbol:         _ZN2at6native12_GLOBAL__N_131weight_norm_bwd_last_dim_kernelIN3c104HalfEfEEvPT_S6_PKS5_S8_S8_PKT0_ii.kd
    .uniform_work_group_size: 1
    .uses_dynamic_stack: false
    .vgpr_count:     12
    .vgpr_spill_count: 0
    .wavefront_size: 32
    .workgroup_processor_mode: 1
amdhsa.target:   amdgcn-amd-amdhsa--gfx1201
amdhsa.version:
  - 1
  - 2
...

	.end_amdgpu_metadata
